;; amdgpu-corpus repo=ROCm/rocFFT kind=compiled arch=gfx1201 opt=O3
	.text
	.amdgcn_target "amdgcn-amd-amdhsa--gfx1201"
	.amdhsa_code_object_version 6
	.protected	bluestein_single_back_len1920_dim1_dp_op_CI_CI ; -- Begin function bluestein_single_back_len1920_dim1_dp_op_CI_CI
	.globl	bluestein_single_back_len1920_dim1_dp_op_CI_CI
	.p2align	8
	.type	bluestein_single_back_len1920_dim1_dp_op_CI_CI,@function
bluestein_single_back_len1920_dim1_dp_op_CI_CI: ; @bluestein_single_back_len1920_dim1_dp_op_CI_CI
; %bb.0:
	s_load_b128 s[12:15], s[0:1], 0x28
	v_mul_u32_u24_e32 v1, 0x223, v0
	v_mov_b32_e32 v14, 0
	s_mov_b32 s2, exec_lo
	s_delay_alu instid0(VALU_DEP_2) | instskip(NEXT) | instid1(VALU_DEP_1)
	v_lshrrev_b32_e32 v3, 16, v1
	v_lshl_add_u32 v13, ttmp9, 1, v3
	s_wait_kmcnt 0x0
	s_delay_alu instid0(VALU_DEP_1)
	v_cmpx_gt_u64_e64 s[12:13], v[13:14]
	s_cbranch_execz .LBB0_23
; %bb.1:
	s_clause 0x1
	s_load_b128 s[4:7], s[0:1], 0x18
	s_load_b64 s[12:13], s[0:1], 0x0
	v_mul_lo_u16 v1, 0x78, v3
	v_dual_mov_b32 v14, v13 :: v_dual_and_b32 v3, 1, v3
	s_delay_alu instid0(VALU_DEP_2) | instskip(NEXT) | instid1(VALU_DEP_1)
	v_sub_nc_u16 v2, v0, v1
	v_and_b32_e32 v20, 0xffff, v2
	s_delay_alu instid0(VALU_DEP_1)
	v_lshlrev_b32_e32 v39, 4, v20
	s_wait_kmcnt 0x0
	s_load_b128 s[8:11], s[4:5], 0x0
	s_clause 0x3
	global_load_b128 v[98:101], v39, s[12:13]
	global_load_b128 v[94:97], v39, s[12:13] offset:3072
	global_load_b128 v[60:63], v39, s[12:13] offset:6144
	global_load_b128 v[90:93], v39, s[12:13] offset:9216
	scratch_store_b64 off, v[14:15], off offset:16 ; 8-byte Folded Spill
	s_wait_kmcnt 0x0
	v_mad_co_u64_u32 v[0:1], null, s10, v13, 0
	s_mul_u64 s[2:3], s[8:9], 0xc0
	s_mul_u64 s[4:5], s[8:9], 0x1800
	s_lshl_b64 s[16:17], s[2:3], 4
	s_delay_alu instid0(VALU_DEP_1) | instskip(NEXT) | instid1(VALU_DEP_1)
	v_mad_co_u64_u32 v[13:14], null, s11, v13, v[1:2]
	v_mov_b32_e32 v1, v13
	v_or_b32_e32 v19, 0x600, v20
	v_or_b32_e32 v16, 0x180, v20
	;; [unrolled: 1-line block ×4, first 2 shown]
	v_mad_co_u64_u32 v[4:5], null, s8, v20, 0
	v_mad_co_u64_u32 v[21:22], null, s8, v19, 0
	;; [unrolled: 1-line block ×5, first 2 shown]
	s_delay_alu instid0(VALU_DEP_4)
	v_mov_b32_e32 v12, v22
	v_lshlrev_b64_e32 v[0:1], 4, v[0:1]
	v_mad_co_u64_u32 v[14:15], null, s9, v20, v[5:6]
	v_mad_co_u64_u32 v[15:16], null, s9, v16, v[7:8]
	v_mad_co_u64_u32 v[16:17], null, s9, v17, v[9:10]
	v_mad_co_u64_u32 v[17:18], null, s9, v18, v[11:12]
	v_mad_co_u64_u32 v[18:19], null, s9, v19, v[12:13]
	v_mov_b32_e32 v5, v14
	v_add_co_u32 v31, vcc_lo, s14, v0
	v_mov_b32_e32 v7, v15
	v_add_co_ci_u32_e32 v32, vcc_lo, s15, v1, vcc_lo
	v_mov_b32_e32 v22, v18
	v_lshlrev_b64_e32 v[4:5], 4, v[4:5]
	v_mov_b32_e32 v9, v16
	v_lshlrev_b64_e32 v[6:7], 4, v[6:7]
	;; [unrolled: 2-line block ×3, first 2 shown]
	v_add_co_u32 v4, vcc_lo, v31, v4
	s_wait_alu 0xfffd
	v_add_co_ci_u32_e32 v5, vcc_lo, v32, v5, vcc_lo
	v_lshlrev_b64_e32 v[0:1], 4, v[8:9]
	s_delay_alu instid0(VALU_DEP_3) | instskip(SKIP_1) | instid1(VALU_DEP_3)
	v_add_co_u32 v8, vcc_lo, v4, s16
	s_wait_alu 0xfffd
	v_add_co_ci_u32_e32 v9, vcc_lo, s17, v5, vcc_lo
	v_add_co_u32 v12, vcc_lo, v31, v6
	s_wait_alu 0xfffd
	v_add_co_ci_u32_e32 v13, vcc_lo, v32, v7, vcc_lo
	;; [unrolled: 3-line block ×3, first 2 shown]
	v_lshlrev_b64_e32 v[23:24], 4, v[10:11]
	v_add_co_u32 v0, vcc_lo, v31, v0
	s_wait_alu 0xfffd
	v_add_co_ci_u32_e32 v1, vcc_lo, v32, v1, vcc_lo
	s_clause 0x3
	global_load_b128 v[4:7], v[4:5], off
	global_load_b128 v[8:11], v[8:9], off
	;; [unrolled: 1-line block ×4, first 2 shown]
	v_add_co_u32 v25, vcc_lo, v25, s4
	s_wait_alu 0xfffd
	v_add_co_ci_u32_e32 v26, vcc_lo, s5, v26, vcc_lo
	v_add_co_u32 v27, vcc_lo, v31, v23
	s_wait_alu 0xfffd
	v_add_co_ci_u32_e32 v28, vcc_lo, v32, v24, vcc_lo
	global_load_b128 v[102:105], v39, s[12:13] offset:12288
	s_clause 0x2
	global_load_b128 v[21:24], v[0:1], off
	global_load_b128 v[40:43], v[25:26], off
	;; [unrolled: 1-line block ×3, first 2 shown]
	global_load_b128 v[106:109], v39, s[12:13] offset:18432
	v_add_co_u32 v0, vcc_lo, v31, v29
	s_wait_alu 0xfffd
	v_add_co_ci_u32_e32 v1, vcc_lo, v32, v30, vcc_lo
	v_add_co_u32 v25, vcc_lo, v25, s4
	s_wait_alu 0xfffd
	v_add_co_ci_u32_e32 v26, vcc_lo, s5, v26, vcc_lo
	global_load_b128 v[48:51], v[0:1], off
	global_load_b128 v[110:113], v39, s[12:13] offset:24576
	v_add_co_u32 v0, vcc_lo, v25, s4
	s_wait_alu 0xfffd
	v_add_co_ci_u32_e32 v1, vcc_lo, s5, v26, vcc_lo
	global_load_b128 v[122:125], v39, s[12:13] offset:15360
	global_load_b128 v[52:55], v[25:26], off
	s_clause 0x1
	global_load_b128 v[114:117], v39, s[12:13] offset:21504
	global_load_b128 v[118:121], v39, s[12:13] offset:27648
	global_load_b128 v[56:59], v[0:1], off
	v_cmp_eq_u32_e32 vcc_lo, 1, v3
	s_wait_alu 0xfffd
	v_cndmask_b32_e64 v198, 0, 0x780, vcc_lo
	v_cmp_gt_u16_e32 vcc_lo, 0x48, v2
	s_delay_alu instid0(VALU_DEP_2) | instskip(NEXT) | instid1(VALU_DEP_1)
	v_or_b32_e32 v3, v198, v20
	v_lshlrev_b32_e32 v3, 4, v3
	s_wait_loadcnt 0x13
	scratch_store_b128 off, v[98:101], off offset:72 ; 16-byte Folded Spill
	s_wait_loadcnt 0x12
	scratch_store_b128 off, v[94:97], off offset:56 ; 16-byte Folded Spill
	s_wait_loadcnt 0x11
	scratch_store_b128 off, v[60:63], off offset:40 ; 16-byte Folded Spill
	s_wait_loadcnt 0x10
	scratch_store_b128 off, v[90:93], off offset:24 ; 16-byte Folded Spill
	s_wait_loadcnt 0xf
	v_mul_f64_e32 v[25:26], v[6:7], v[100:101]
	v_mul_f64_e32 v[27:28], v[4:5], v[100:101]
	s_wait_loadcnt 0xd
	v_mul_f64_e32 v[29:30], v[14:15], v[62:63]
	v_mul_f64_e32 v[31:32], v[12:13], v[62:63]
	;; [unrolled: 1-line block ×4, first 2 shown]
	s_wait_loadcnt 0xc
	v_mul_f64_e32 v[68:69], v[18:19], v[92:93]
	v_mul_f64_e32 v[70:71], v[16:17], v[92:93]
	s_wait_loadcnt 0xa
	v_mul_f64_e32 v[33:34], v[23:24], v[104:105]
	v_mul_f64_e32 v[35:36], v[21:22], v[104:105]
	;; [unrolled: 3-line block ×3, first 2 shown]
	s_clause 0x1
	scratch_store_b128 off, v[102:105], off offset:88
	scratch_store_b128 off, v[106:109], off offset:104
	s_wait_loadcnt 0x5
	v_mul_f64_e32 v[74:75], v[50:51], v[112:113]
	s_wait_loadcnt 0x4
	v_mul_f64_e32 v[78:79], v[42:43], v[124:125]
	v_mul_f64_e32 v[80:81], v[40:41], v[124:125]
	;; [unrolled: 1-line block ×3, first 2 shown]
	s_wait_loadcnt 0x2
	v_mul_f64_e32 v[82:83], v[54:55], v[116:117]
	v_mul_f64_e32 v[84:85], v[52:53], v[116:117]
	s_wait_loadcnt 0x0
	v_mul_f64_e32 v[86:87], v[58:59], v[120:121]
	v_mul_f64_e32 v[88:89], v[56:57], v[120:121]
	s_clause 0x3
	scratch_store_b128 off, v[110:113], off offset:120
	scratch_store_b128 off, v[114:117], off offset:136
	;; [unrolled: 1-line block ×4, first 2 shown]
	s_load_b64 s[10:11], s[0:1], 0x38
	s_load_b128 s[4:7], s[6:7], 0x0
	v_fma_f64 v[4:5], v[4:5], v[98:99], v[25:26]
	v_fma_f64 v[6:7], v[6:7], v[98:99], -v[27:28]
	v_fma_f64 v[12:13], v[12:13], v[60:61], v[29:30]
	v_fma_f64 v[14:15], v[14:15], v[60:61], -v[31:32]
	v_fma_f64 v[8:9], v[8:9], v[94:95], v[37:38]
	v_fma_f64 v[10:11], v[10:11], v[94:95], -v[64:65]
	v_fma_f64 v[64:65], v[16:17], v[90:91], v[68:69]
	v_add_co_u32 v16, s2, s12, v39
	s_delay_alu instid0(VALU_DEP_1)
	v_add_co_ci_u32_e64 v17, null, s13, 0, s2
	s_clause 0x1
	scratch_store_b64 off, v[16:17], off offset:4
	scratch_store_b32 off, v3, off
	v_fma_f64 v[60:61], v[21:22], v[102:103], v[33:34]
	v_fma_f64 v[62:63], v[23:24], v[102:103], -v[35:36]
	v_fma_f64 v[22:23], v[44:45], v[106:107], v[66:67]
	v_fma_f64 v[24:25], v[46:47], v[106:107], -v[72:73]
	v_fma_f64 v[66:67], v[18:19], v[90:91], -v[70:71]
	v_lshl_add_u32 v21, v198, 4, v39
	ds_store_b128 v3, v[4:7]
	ds_store_b128 v21, v[8:11] offset:3072
	ds_store_b128 v21, v[12:15] offset:6144
	;; [unrolled: 1-line block ×4, first 2 shown]
	v_fma_f64 v[40:41], v[40:41], v[122:123], v[78:79]
	v_fma_f64 v[42:43], v[42:43], v[122:123], -v[80:81]
	v_fma_f64 v[44:45], v[48:49], v[110:111], v[74:75]
	v_fma_f64 v[46:47], v[50:51], v[110:111], -v[76:77]
	;; [unrolled: 2-line block ×4, first 2 shown]
	ds_store_b128 v21, v[40:43] offset:15360
	ds_store_b128 v21, v[22:25] offset:18432
	;; [unrolled: 1-line block ×5, first 2 shown]
	s_and_saveexec_b32 s3, vcc_lo
	s_cbranch_execz .LBB0_3
; %bb.2:
	scratch_load_b64 v[16:17], off, off offset:4 ; 8-byte Folded Reload
	v_mad_co_u64_u32 v[18:19], null, 0xffff9b80, s8, v[0:1]
	s_mul_i32 s2, s9, 0xffff9b80
	s_wait_loadcnt 0x0
	s_clause 0x1
	global_load_b128 v[0:3], v[16:17], off offset:1920
	global_load_b128 v[4:7], v[16:17], off offset:4992
	s_wait_alu 0xfffe
	s_sub_co_i32 s2, s2, s8
	s_clause 0x1
	global_load_b128 v[8:11], v[16:17], off offset:8064
	global_load_b128 v[12:15], v[16:17], off offset:11136
	s_wait_alu 0xfffe
	v_add_nc_u32_e32 v19, s2, v19
	v_add_co_u32 v26, s2, v18, s16
	s_clause 0x1
	global_load_b128 v[22:25], v[16:17], off offset:14208
	global_load_b128 v[40:43], v[16:17], off offset:17280
	s_wait_alu 0xf1ff
	v_add_co_ci_u32_e64 v27, s2, s17, v19, s2
	v_add_co_u32 v28, s2, v26, s16
	global_load_b128 v[44:47], v[18:19], off
	s_wait_alu 0xf1ff
	v_add_co_ci_u32_e64 v29, s2, s17, v27, s2
	v_add_co_u32 v30, s2, v28, s16
	global_load_b128 v[48:51], v[26:27], off
	s_wait_alu 0xf1ff
	v_add_co_ci_u32_e64 v31, s2, s17, v29, s2
	v_add_co_u32 v32, s2, v30, s16
	s_wait_alu 0xf1ff
	s_delay_alu instid0(VALU_DEP_2) | instskip(NEXT) | instid1(VALU_DEP_2)
	v_add_co_ci_u32_e64 v33, s2, s17, v31, s2
	v_add_co_u32 v18, s2, v32, s16
	s_wait_alu 0xf1ff
	s_delay_alu instid0(VALU_DEP_2) | instskip(NEXT) | instid1(VALU_DEP_2)
	v_add_co_ci_u32_e64 v19, s2, s17, v33, s2
	v_add_co_u32 v26, s2, v18, s16
	s_wait_alu 0xf1ff
	s_delay_alu instid0(VALU_DEP_2)
	v_add_co_ci_u32_e64 v27, s2, s17, v19, s2
	global_load_b128 v[52:55], v[28:29], off
	global_load_b128 v[56:59], v[30:31], off
	global_load_b128 v[60:63], v[32:33], off
	global_load_b128 v[64:67], v[18:19], off
	global_load_b128 v[68:71], v[26:27], off
	v_add_co_u32 v18, s2, v26, s16
	s_wait_alu 0xf1ff
	v_add_co_ci_u32_e64 v19, s2, s17, v27, s2
	global_load_b128 v[72:75], v[16:17], off offset:20352
	v_add_co_u32 v26, s2, v18, s16
	s_wait_alu 0xf1ff
	v_add_co_ci_u32_e64 v27, s2, s17, v19, s2
	global_load_b128 v[76:79], v[18:19], off
	v_add_co_u32 v18, s2, v26, s16
	s_wait_alu 0xf1ff
	v_add_co_ci_u32_e64 v19, s2, s17, v27, s2
	global_load_b128 v[80:83], v[16:17], off offset:23424
	global_load_b128 v[84:87], v[26:27], off
	s_clause 0x1
	global_load_b128 v[88:91], v[16:17], off offset:26496
	global_load_b128 v[92:95], v[16:17], off offset:29568
	global_load_b128 v[96:99], v[18:19], off
	s_wait_loadcnt 0xd
	v_mul_f64_e32 v[18:19], v[46:47], v[2:3]
	v_mul_f64_e32 v[2:3], v[44:45], v[2:3]
	s_wait_loadcnt 0xc
	v_mul_f64_e32 v[28:29], v[50:51], v[6:7]
	v_mul_f64_e32 v[6:7], v[48:49], v[6:7]
	;; [unrolled: 3-line block ×10, first 2 shown]
	v_fma_f64 v[24:25], v[44:45], v[0:1], v[18:19]
	v_fma_f64 v[26:27], v[46:47], v[0:1], -v[2:3]
	v_fma_f64 v[0:1], v[48:49], v[4:5], v[28:29]
	v_fma_f64 v[2:3], v[50:51], v[4:5], -v[6:7]
	v_fma_f64 v[4:5], v[52:53], v[8:9], v[30:31]
	v_fma_f64 v[6:7], v[54:55], v[8:9], -v[10:11]
	v_fma_f64 v[8:9], v[56:57], v[12:13], v[32:33]
	v_fma_f64 v[10:11], v[58:59], v[12:13], -v[14:15]
	v_fma_f64 v[12:13], v[60:61], v[22:23], v[34:35]
	v_fma_f64 v[14:15], v[62:63], v[22:23], -v[36:37]
	v_fma_f64 v[42:43], v[64:65], v[40:41], v[38:39]
	v_fma_f64 v[44:45], v[66:67], v[40:41], -v[100:101]
	v_fma_f64 v[46:47], v[68:69], v[72:73], v[102:103]
	v_fma_f64 v[48:49], v[70:71], v[72:73], -v[74:75]
	v_fma_f64 v[50:51], v[76:77], v[80:81], v[104:105]
	v_fma_f64 v[52:53], v[78:79], v[80:81], -v[82:83]
	v_fma_f64 v[54:55], v[84:85], v[88:89], v[106:107]
	v_fma_f64 v[56:57], v[86:87], v[88:89], -v[90:91]
	v_fma_f64 v[58:59], v[96:97], v[92:93], v[108:109]
	v_fma_f64 v[60:61], v[98:99], v[92:93], -v[94:95]
	ds_store_b128 v21, v[24:27] offset:1920
	ds_store_b128 v21, v[0:3] offset:4992
	;; [unrolled: 1-line block ×10, first 2 shown]
.LBB0_3:
	s_wait_alu 0xfffe
	s_or_b32 exec_lo, exec_lo, s3
	global_wb scope:SCOPE_SE
	s_wait_storecnt_dscnt 0x0
	s_wait_kmcnt 0x0
	s_barrier_signal -1
	s_barrier_wait -1
	global_inv scope:SCOPE_SE
	scratch_load_b32 v0, off, off           ; 4-byte Folded Reload
                                        ; implicit-def: $vgpr80_vgpr81
                                        ; implicit-def: $vgpr56_vgpr57
                                        ; implicit-def: $vgpr68_vgpr69
                                        ; implicit-def: $vgpr52_vgpr53
                                        ; implicit-def: $vgpr60_vgpr61
                                        ; implicit-def: $vgpr84_vgpr85
                                        ; implicit-def: $vgpr4_vgpr5
                                        ; implicit-def: $vgpr72_vgpr73
                                        ; implicit-def: $vgpr88_vgpr89
	s_wait_loadcnt 0x0
	ds_load_b128 v[12:15], v0
	ds_load_b128 v[92:95], v21 offset:3072
	ds_load_b128 v[100:103], v21 offset:6144
	;; [unrolled: 1-line block ×9, first 2 shown]
                                        ; implicit-def: $vgpr0_vgpr1
	s_and_saveexec_b32 s2, vcc_lo
	s_cbranch_execz .LBB0_5
; %bb.4:
	ds_load_b128 v[88:91], v21 offset:1920
	ds_load_b128 v[0:3], v21 offset:4992
	;; [unrolled: 1-line block ×10, first 2 shown]
.LBB0_5:
	s_wait_alu 0xfffe
	s_or_b32 exec_lo, exec_lo, s2
	s_wait_dscnt 0x3
	v_add_f64_e32 v[18:19], v[8:9], v[76:77]
	s_wait_dscnt 0x1
	v_add_f64_e32 v[22:23], v[100:101], v[44:45]
	v_add_f64_e32 v[24:25], v[12:13], v[100:101]
	v_add_f64_e64 v[26:27], v[102:103], -v[46:47]
	v_add_f64_e32 v[28:29], v[64:65], v[48:49]
	s_wait_dscnt 0x0
	v_add_f64_e32 v[32:33], v[96:97], v[40:41]
	v_add_f64_e32 v[34:35], v[98:99], v[42:43]
	;; [unrolled: 1-line block ×9, first 2 shown]
	s_mov_b32 s2, 0x134454ff
	s_mov_b32 s3, 0x3fee6f0e
	;; [unrolled: 1-line block ×3, first 2 shown]
	s_wait_alu 0xfffe
	s_mov_b32 s16, s2
	v_add_f64_e64 v[30:31], v[10:11], -v[78:79]
	v_add_f64_e64 v[38:39], v[100:101], -v[8:9]
	;; [unrolled: 1-line block ×5, first 2 shown]
	v_add_f64_e32 v[110:111], v[14:15], v[102:103]
	v_add_f64_e64 v[100:101], v[100:101], -v[44:45]
	v_add_f64_e64 v[114:115], v[8:9], -v[76:77]
	;; [unrolled: 1-line block ×6, first 2 shown]
	v_add_f64_e32 v[132:133], v[92:93], v[96:97]
	v_add_f64_e64 v[134:135], v[98:99], -v[42:43]
	v_add_f64_e64 v[136:137], v[66:67], -v[50:51]
	;; [unrolled: 1-line block ×5, first 2 shown]
	s_mov_b32 s8, 0x4755a5e
	s_mov_b32 s9, 0x3fe2cf23
	v_fma_f64 v[18:19], v[18:19], -0.5, v[12:13]
	v_fma_f64 v[12:13], v[22:23], -0.5, v[12:13]
	v_add_f64_e64 v[22:23], v[96:97], -v[64:65]
	v_add_f64_e64 v[96:97], v[96:97], -v[40:41]
	v_fma_f64 v[28:29], v[28:29], -0.5, v[92:93]
	v_fma_f64 v[32:33], v[32:33], -0.5, v[92:93]
	v_add_f64_e64 v[92:93], v[64:65], -v[48:49]
	v_fma_f64 v[34:35], v[34:35], -0.5, v[94:95]
	v_fma_f64 v[36:37], v[36:37], -0.5, v[94:95]
	v_add_f64_e32 v[8:9], v[24:25], v[8:9]
	v_add_f64_e64 v[24:25], v[82:83], -v[70:71]
	v_fma_f64 v[112:113], v[112:113], -0.5, v[14:15]
	v_fma_f64 v[14:15], v[120:121], -0.5, v[14:15]
	;; [unrolled: 1-line block ×5, first 2 shown]
	v_add_f64_e64 v[126:127], v[4:5], -v[60:61]
	v_fma_f64 v[130:131], v[130:131], -0.5, v[2:3]
	s_mov_b32 s19, 0xbfe2cf23
	s_wait_alu 0xfffe
	s_mov_b32 s18, s8
	v_add_f64_e64 v[138:139], v[40:41], -v[48:49]
	v_add_f64_e64 v[142:143], v[48:49], -v[40:41]
	v_add_f64_e32 v[144:145], v[94:95], v[98:99]
	v_add_f64_e64 v[146:147], v[98:99], -v[66:67]
	v_add_f64_e64 v[94:95], v[42:43], -v[50:51]
	;; [unrolled: 1-line block ×4, first 2 shown]
	v_add_f64_e32 v[152:153], v[56:57], v[84:85]
	v_add_f64_e32 v[158:159], v[52:53], v[72:73]
	;; [unrolled: 1-line block ×5, first 2 shown]
	v_add_f64_e64 v[176:177], v[4:5], -v[80:81]
	v_add_f64_e64 v[178:179], v[60:61], -v[68:69]
	;; [unrolled: 1-line block ×6, first 2 shown]
	v_fma_f64 v[170:171], v[26:27], s[2:3], v[18:19]
	v_fma_f64 v[18:19], v[26:27], s[16:17], v[18:19]
	;; [unrolled: 1-line block ×3, first 2 shown]
	v_add_f64_e64 v[194:195], v[82:83], -v[6:7]
	v_fma_f64 v[180:181], v[134:135], s[2:3], v[28:29]
	v_fma_f64 v[28:29], v[134:135], s[16:17], v[28:29]
	;; [unrolled: 1-line block ×7, first 2 shown]
	v_add_f64_e64 v[196:197], v[70:71], -v[62:63]
	v_add_f64_e32 v[38:39], v[38:39], v[104:105]
	v_add_f64_e32 v[104:105], v[106:107], v[108:109]
	;; [unrolled: 1-line block ×6, first 2 shown]
	v_fma_f64 v[12:13], v[30:31], s[2:3], v[12:13]
	v_fma_f64 v[76:77], v[100:101], s[16:17], v[112:113]
	;; [unrolled: 1-line block ×12, first 2 shown]
	s_mov_b32 s14, 0x372fe950
	s_mov_b32 s15, 0x3fd3c6ef
	v_add_f64_e32 v[150:151], v[72:73], v[88:89]
	v_add_f64_e64 v[154:155], v[74:75], -v[54:55]
	v_add_f64_e64 v[156:157], v[86:87], -v[58:59]
	;; [unrolled: 1-line block ×4, first 2 shown]
	v_add_f64_e32 v[22:23], v[22:23], v[138:139]
	v_fma_f64 v[170:171], v[30:31], s[8:9], v[170:171]
	v_fma_f64 v[18:19], v[30:31], s[18:19], v[18:19]
	v_fma_f64 v[30:31], v[26:27], s[8:9], v[172:173]
	v_add_f64_e32 v[138:139], v[140:141], v[142:143]
	v_add_f64_e32 v[94:95], v[146:147], v[94:95]
	v_fma_f64 v[140:141], v[136:137], s[8:9], v[180:181]
	v_add_f64_e32 v[98:99], v[98:99], v[148:149]
	v_fma_f64 v[28:29], v[136:137], s[18:19], v[28:29]
	v_fma_f64 v[136:137], v[134:135], s[8:9], v[182:183]
	;; [unrolled: 1-line block ×7, first 2 shown]
	v_fma_f64 v[96:97], v[152:153], -0.5, v[88:89]
	v_fma_f64 v[88:89], v[158:159], -0.5, v[88:89]
	v_fma_f64 v[146:147], v[160:161], -0.5, v[90:91]
	v_fma_f64 v[148:149], v[174:175], -0.5, v[90:91]
	v_add_f64_e32 v[152:153], v[178:179], v[176:177]
	v_add_f64_e32 v[4:5], v[184:185], v[4:5]
	;; [unrolled: 1-line block ×5, first 2 shown]
	v_fma_f64 v[14:15], v[114:115], s[16:17], v[14:15]
	v_add_f64_e32 v[44:45], v[8:9], v[44:45]
	v_fma_f64 v[8:9], v[26:27], s[18:19], v[12:13]
	v_fma_f64 v[12:13], v[114:115], s[18:19], v[76:77]
	;; [unrolled: 1-line block ×11, first 2 shown]
	v_add_f64_e32 v[2:3], v[6:7], v[2:3]
	v_fma_f64 v[6:7], v[24:25], s[8:9], v[120:121]
	s_wait_alu 0xfffe
	v_fma_f64 v[122:123], v[38:39], s[14:15], v[170:171]
	v_fma_f64 v[18:19], v[38:39], s[14:15], v[18:19]
	v_add_f64_e32 v[38:39], v[74:75], v[90:91]
	v_add_f64_e32 v[64:65], v[132:133], v[64:65]
	;; [unrolled: 1-line block ×3, first 2 shown]
	v_fma_f64 v[24:25], v[22:23], s[14:15], v[140:141]
	v_add_f64_e64 v[124:125], v[72:73], -v[84:85]
	v_fma_f64 v[22:23], v[22:23], s[14:15], v[28:29]
	v_fma_f64 v[28:29], v[138:139], s[14:15], v[136:137]
	;; [unrolled: 1-line block ×7, first 2 shown]
	v_add_f64_e32 v[98:99], v[84:85], v[150:151]
	v_fma_f64 v[120:121], v[154:155], s[2:3], v[96:97]
	v_add_f64_e64 v[126:127], v[52:53], -v[56:57]
	v_fma_f64 v[96:97], v[154:155], s[16:17], v[96:97]
	v_fma_f64 v[128:129], v[156:157], s[16:17], v[88:89]
	v_add_f64_e64 v[72:73], v[84:85], -v[72:73]
	v_add_f64_e64 v[84:85], v[56:57], -v[52:53]
	v_fma_f64 v[88:89], v[156:157], s[2:3], v[88:89]
	v_add_f64_e64 v[130:131], v[74:75], -v[86:87]
	v_add_f64_e64 v[132:133], v[54:55], -v[58:59]
	v_fma_f64 v[134:135], v[162:163], s[2:3], v[146:147]
	v_fma_f64 v[136:137], v[168:169], s[2:3], v[148:149]
	v_add_f64_e64 v[74:75], v[86:87], -v[74:75]
	v_add_f64_e64 v[138:139], v[58:59], -v[54:55]
	v_fma_f64 v[140:141], v[168:169], s[16:17], v[148:149]
	v_fma_f64 v[78:79], v[152:153], s[14:15], v[78:79]
	;; [unrolled: 1-line block ×5, first 2 shown]
	v_add_f64_e32 v[0:1], v[80:81], v[0:1]
	v_fma_f64 v[112:113], v[160:161], s[14:15], v[116:117]
	v_fma_f64 v[116:117], v[158:159], s[14:15], v[118:119]
	;; [unrolled: 1-line block ×3, first 2 shown]
	v_add_f64_e32 v[2:3], v[82:83], v[2:3]
	v_fma_f64 v[6:7], v[152:153], s[14:15], v[6:7]
	s_mov_b32 s20, 0x9b97f4a8
	v_add_f64_e32 v[38:39], v[86:87], v[38:39]
	v_fma_f64 v[86:87], v[162:163], s[16:17], v[146:147]
	s_mov_b32 s21, 0x3fe9e377
	v_fma_f64 v[30:31], v[104:105], s[14:15], v[30:31]
	v_fma_f64 v[14:15], v[100:101], s[8:9], v[14:15]
	v_add_f64_e32 v[48:49], v[64:65], v[48:49]
	v_add_f64_e32 v[50:51], v[66:67], v[50:51]
	v_fma_f64 v[36:37], v[94:95], s[14:15], v[36:37]
	v_mul_f64_e32 v[64:65], s[20:21], v[24:25]
	v_mul_f64_e32 v[82:83], s[14:15], v[32:33]
	;; [unrolled: 1-line block ×7, first 2 shown]
	v_add_f64_e32 v[56:57], v[56:57], v[98:99]
	v_fma_f64 v[98:99], v[156:157], s[8:9], v[120:121]
	v_add_f64_e32 v[120:121], v[126:127], v[124:125]
	v_fma_f64 v[96:97], v[156:157], s[18:19], v[96:97]
	v_fma_f64 v[124:125], v[154:155], s[8:9], v[128:129]
	v_add_f64_e32 v[72:73], v[84:85], v[72:73]
	v_fma_f64 v[84:85], v[154:155], s[18:19], v[88:89]
	v_add_f64_e32 v[88:89], v[132:133], v[130:131]
	v_fma_f64 v[126:127], v[168:169], s[8:9], v[134:135]
	v_fma_f64 v[128:129], v[162:163], s[18:19], v[136:137]
	v_add_f64_e32 v[74:75], v[138:139], v[74:75]
	v_fma_f64 v[130:131], v[162:163], s[8:9], v[140:141]
	v_mul_f64_e32 v[136:137], s[20:21], v[78:79]
	v_mul_f64_e32 v[132:133], s[2:3], v[108:109]
	v_mul_f64_e32 v[134:135], s[14:15], v[110:111]
	v_mul_f64_e32 v[138:139], s[16:17], v[4:5]
	v_add_f64_e32 v[68:69], v[68:69], v[0:1]
	v_mul_f64_e32 v[140:141], s[14:15], v[112:113]
	v_mul_f64_e32 v[142:143], s[20:21], v[116:117]
	;; [unrolled: 1-line block ×3, first 2 shown]
	v_fma_f64 v[104:105], v[104:105], s[14:15], v[8:9]
	v_mul_f64_e32 v[66:67], s[2:3], v[90:91]
	v_add_f64_e32 v[46:47], v[10:11], v[46:47]
	v_add_f64_e32 v[8:9], v[58:59], v[38:39]
	v_fma_f64 v[38:39], v[168:169], s[18:19], v[86:87]
	v_add_f64_e32 v[58:59], v[70:71], v[2:3]
	v_mul_f64_e32 v[70:71], s[18:19], v[6:7]
	v_fma_f64 v[86:87], v[106:107], s[14:15], v[12:13]
	v_fma_f64 v[106:107], v[106:107], s[14:15], v[26:27]
	;; [unrolled: 1-line block ×4, first 2 shown]
	v_add_f64_e32 v[146:147], v[48:49], v[40:41]
	v_fma_f64 v[148:149], v[36:37], s[8:9], v[64:65]
	v_fma_f64 v[34:35], v[34:35], s[2:3], -v[82:83]
	v_fma_f64 v[82:83], v[92:93], s[8:9], -v[94:95]
	v_add_f64_e32 v[94:95], v[50:51], v[42:43]
	v_fma_f64 v[36:37], v[36:37], s[20:21], v[24:25]
	v_fma_f64 v[90:91], v[90:91], s[14:15], v[100:101]
	v_fma_f64 v[32:33], v[32:33], s[16:17], -v[114:115]
	v_fma_f64 v[22:23], v[22:23], s[18:19], -v[118:119]
	v_add_f64_e32 v[0:1], v[52:53], v[56:57]
	v_fma_f64 v[2:3], v[120:121], s[14:15], v[98:99]
	v_fma_f64 v[114:115], v[120:121], s[14:15], v[96:97]
	;; [unrolled: 1-line block ×4, first 2 shown]
	v_mul_lo_u16 v16, v20, 10
	v_fma_f64 v[120:121], v[88:89], s[14:15], v[126:127]
	global_wb scope:SCOPE_SE
	v_fma_f64 v[124:125], v[74:75], s[14:15], v[128:129]
	v_fma_f64 v[74:75], v[74:75], s[14:15], v[130:131]
	v_fma_f64 v[116:117], v[116:117], s[8:9], -v[136:137]
	v_fma_f64 v[126:127], v[4:5], s[14:15], v[132:133]
	v_fma_f64 v[112:113], v[112:113], s[2:3], -v[134:135]
	v_fma_f64 v[108:109], v[108:109], s[14:15], v[138:139]
	v_add_f64_e32 v[4:5], v[60:61], v[68:69]
	v_fma_f64 v[110:111], v[110:111], s[16:17], -v[140:141]
	v_fma_f64 v[128:129], v[78:79], s[18:19], -v[142:143]
	v_fma_f64 v[6:7], v[6:7], s[20:21], v[144:145]
	s_load_b64 s[2:3], s[0:1], 0x8
	v_fma_f64 v[28:29], v[28:29], s[14:15], v[66:67]
	v_and_b32_e32 v16, 0xffff, v16
	v_add_f64_e32 v[8:9], v[54:55], v[8:9]
	v_fma_f64 v[12:13], v[88:89], s[14:15], v[38:39]
	v_add_f64_e32 v[10:11], v[62:63], v[58:59]
	v_fma_f64 v[14:15], v[80:81], s[20:21], v[70:71]
	s_wait_kmcnt 0x0
	s_barrier_signal -1
	s_barrier_wait -1
	global_inv scope:SCOPE_SE
	v_add_f64_e32 v[24:25], v[44:45], v[146:147]
	v_add_f64_e64 v[68:69], v[44:45], -v[146:147]
	v_add_f64_e32 v[60:61], v[104:105], v[34:35]
	v_add_f64_e32 v[64:65], v[18:19], v[82:83]
	;; [unrolled: 1-line block ×7, first 2 shown]
	v_add_f64_e64 v[80:81], v[122:123], -v[148:149]
	v_add_f64_e64 v[88:89], v[104:105], -v[34:35]
	;; [unrolled: 1-line block ×8, first 2 shown]
	v_add_f64_e32 v[40:41], v[122:123], v[148:149]
	v_add_co_u32 v18, s0, 0x78, v20
	v_add_f64_e32 v[96:97], v[118:119], v[126:127]
	v_add_f64_e32 v[52:53], v[72:73], v[112:113]
	;; [unrolled: 1-line block ×6, first 2 shown]
	v_add_f64_e64 v[44:45], v[0:1], -v[4:5]
	v_add_f64_e64 v[100:101], v[2:3], -v[6:7]
	;; [unrolled: 1-line block ×11, first 2 shown]
	v_add_f64_e32 v[48:49], v[30:31], v[28:29]
	v_add_lshl_u32 v23, v198, v16, 4
	v_mul_u32_u24_e32 v16, 10, v18
	s_wait_alu 0xf1ff
	v_add_co_ci_u32_e64 v17, null, 0, 0, s0
	ds_store_b128 v23, v[24:27]
	ds_store_b128 v23, v[40:43] offset:16
	ds_store_b128 v23, v[48:51] offset:32
	;; [unrolled: 1-line block ×5, first 2 shown]
	scratch_store_b32 off, v16, off offset:220 ; 4-byte Folded Spill
	ds_store_b128 v23, v[80:83] offset:96
	ds_store_b128 v23, v[84:87] offset:112
	ds_store_b128 v23, v[88:91] offset:128
	ds_store_b128 v23, v[92:95] offset:144
	s_and_saveexec_b32 s0, vcc_lo
	s_cbranch_execz .LBB0_7
; %bb.6:
	v_add_f64_e32 v[26:27], v[10:11], v[8:9]
	v_add_f64_e32 v[24:25], v[4:5], v[0:1]
	;; [unrolled: 1-line block ×4, first 2 shown]
	v_mul_u32_u24_e32 v0, 10, v18
	s_delay_alu instid0(VALU_DEP_1)
	v_add_lshl_u32 v0, v198, v0, 4
	ds_store_b128 v0, v[96:99] offset:32
	ds_store_b128 v0, v[52:55] offset:48
	;; [unrolled: 1-line block ×6, first 2 shown]
	ds_store_b128 v0, v[24:27]
	ds_store_b128 v0, v[10:13] offset:16
	ds_store_b128 v0, v[76:79] offset:128
	;; [unrolled: 1-line block ×3, first 2 shown]
.LBB0_7:
	s_wait_alu 0xfffe
	s_or_b32 exec_lo, exec_lo, s0
	global_wb scope:SCOPE_SE
	s_wait_storecnt_dscnt 0x0
	s_barrier_signal -1
	s_barrier_wait -1
	global_inv scope:SCOPE_SE
	scratch_load_b32 v0, off, off           ; 4-byte Folded Reload
	v_cmp_gt_u16_e64 s0, 0x50, v20
	s_wait_loadcnt 0x0
	ds_load_b128 v[124:127], v0
	ds_load_b128 v[120:123], v21 offset:1920
	ds_load_b128 v[8:11], v21 offset:5120
	;; [unrolled: 1-line block ×11, first 2 shown]
	s_and_saveexec_b32 s1, s0
	s_cbranch_execz .LBB0_9
; %bb.8:
	ds_load_b128 v[96:99], v21 offset:3840
	ds_load_b128 v[52:55], v21 offset:8960
	;; [unrolled: 1-line block ×6, first 2 shown]
.LBB0_9:
	s_wait_alu 0xfffe
	s_or_b32 exec_lo, exec_lo, s1
	v_and_b32_e32 v16, 0xff, v20
	s_mov_b32 s14, 0xe8584caa
	s_mov_b32 s15, 0x3febb67a
	s_mov_b32 s9, 0xbfebb67a
	s_wait_alu 0xfffe
	s_mov_b32 s8, s14
	v_mul_lo_u16 v16, 0xcd, v16
	s_delay_alu instid0(VALU_DEP_1) | instskip(NEXT) | instid1(VALU_DEP_1)
	v_lshrrev_b16 v24, 11, v16
	v_mul_lo_u16 v16, v24, 10
	v_and_b32_e32 v24, 0xffff, v24
	s_delay_alu instid0(VALU_DEP_2) | instskip(NEXT) | instid1(VALU_DEP_2)
	v_sub_nc_u16 v16, v20, v16
	v_mul_u32_u24_e32 v24, 60, v24
	s_delay_alu instid0(VALU_DEP_2) | instskip(SKIP_1) | instid1(VALU_DEP_2)
	v_and_b32_e32 v22, 0xff, v16
	v_and_b32_e32 v16, 0xff, v18
	v_mad_co_u64_u32 v[27:28], null, 0x50, v22, s[2:3]
	s_delay_alu instid0(VALU_DEP_2) | instskip(SKIP_1) | instid1(VALU_DEP_1)
	v_mul_lo_u16 v16, 0xcd, v16
	v_add_nc_u32_e32 v22, v24, v22
	v_add_lshl_u32 v24, v198, v22, 4
	s_clause 0x2
	global_load_b128 v[68:71], v[27:28], off offset:32
	global_load_b128 v[116:119], v[27:28], off offset:48
	;; [unrolled: 1-line block ×3, first 2 shown]
	s_wait_loadcnt_dscnt 0x205
	v_mul_f64_e32 v[25:26], v[82:83], v[70:71]
	s_delay_alu instid0(VALU_DEP_1) | instskip(SKIP_1) | instid1(VALU_DEP_1)
	v_fma_f64 v[29:30], v[80:81], v[68:69], -v[25:26]
	v_mul_f64_e32 v[25:26], v[80:81], v[70:71]
	v_fma_f64 v[31:32], v[82:83], v[68:69], v[25:26]
	s_wait_loadcnt_dscnt 0x1
	v_mul_f64_e32 v[25:26], v[64:65], v[94:95]
	global_load_b128 v[80:83], v[27:28], off offset:16
	v_fma_f64 v[33:34], v[66:67], v[92:93], v[25:26]
	v_mul_f64_e32 v[25:26], v[66:67], v[94:95]
	s_delay_alu instid0(VALU_DEP_1) | instskip(SKIP_1) | instid1(VALU_DEP_1)
	v_fma_f64 v[35:36], v[64:65], v[92:93], -v[25:26]
	v_lshrrev_b16 v25, 11, v16
	v_mul_lo_u16 v16, v25, 10
	v_and_b32_e32 v22, 0xffff, v25
	s_delay_alu instid0(VALU_DEP_2) | instskip(NEXT) | instid1(VALU_DEP_2)
	v_sub_nc_u16 v16, v18, v16
	v_mul_u32_u24_e32 v22, 60, v22
	s_delay_alu instid0(VALU_DEP_2) | instskip(NEXT) | instid1(VALU_DEP_1)
	v_and_b32_e32 v26, 0xff, v16
	v_mad_co_u64_u32 v[18:19], null, 0x50, v26, s[2:3]
	s_delay_alu instid0(VALU_DEP_3) | instskip(NEXT) | instid1(VALU_DEP_1)
	v_add_nc_u32_e32 v22, v22, v26
	v_add_lshl_u32 v22, v198, v22, 4
	s_clause 0x2
	global_load_b128 v[84:87], v[18:19], off offset:32
	global_load_b128 v[88:91], v[18:19], off offset:64
	;; [unrolled: 1-line block ×3, first 2 shown]
	s_wait_loadcnt 0x2
	v_mul_f64_e32 v[37:38], v[62:63], v[86:87]
	s_delay_alu instid0(VALU_DEP_1) | instskip(SKIP_1) | instid1(VALU_DEP_1)
	v_fma_f64 v[37:38], v[60:61], v[84:85], -v[37:38]
	v_mul_f64_e32 v[60:61], v[60:61], v[86:87]
	v_fma_f64 v[148:149], v[62:63], v[84:85], v[60:61]
	s_wait_loadcnt_dscnt 0x100
	v_mul_f64_e32 v[60:61], v[12:13], v[90:91]
	s_delay_alu instid0(VALU_DEP_1) | instskip(SKIP_1) | instid1(VALU_DEP_1)
	v_fma_f64 v[150:151], v[14:15], v[88:89], v[60:61]
	v_mul_f64_e32 v[14:15], v[14:15], v[90:91]
	v_fma_f64 v[152:153], v[12:13], v[88:89], -v[14:15]
	global_load_b128 v[14:17], v[27:28], off
	s_wait_loadcnt 0x0
	v_mul_f64_e32 v[12:13], v[10:11], v[16:17]
	s_delay_alu instid0(VALU_DEP_1) | instskip(SKIP_1) | instid1(VALU_DEP_1)
	v_fma_f64 v[132:133], v[8:9], v[14:15], -v[12:13]
	v_mul_f64_e32 v[8:9], v[8:9], v[16:17]
	v_fma_f64 v[134:135], v[10:11], v[14:15], v[8:9]
	global_load_b128 v[10:13], v[18:19], off
	scratch_store_b128 off, v[14:17], off offset:184 ; 16-byte Folded Spill
	s_wait_loadcnt 0x0
	scratch_store_b128 off, v[10:13], off offset:200 ; 16-byte Folded Spill
	v_mul_f64_e32 v[8:9], v[6:7], v[12:13]
	s_delay_alu instid0(VALU_DEP_1) | instskip(SKIP_1) | instid1(VALU_DEP_1)
	v_fma_f64 v[154:155], v[4:5], v[10:11], -v[8:9]
	v_mul_f64_e32 v[4:5], v[4:5], v[12:13]
	v_fma_f64 v[156:157], v[6:7], v[10:11], v[4:5]
	v_mul_f64_e32 v[4:5], v[2:3], v[82:83]
	s_delay_alu instid0(VALU_DEP_1) | instskip(SKIP_1) | instid1(VALU_DEP_1)
	v_fma_f64 v[136:137], v[0:1], v[80:81], -v[4:5]
	v_mul_f64_e32 v[0:1], v[0:1], v[82:83]
	v_fma_f64 v[138:139], v[2:3], v[80:81], v[0:1]
	;; [unrolled: 5-line block ×3, first 2 shown]
	global_load_b128 v[108:111], v[18:19], off offset:16
	s_wait_loadcnt 0x0
	v_mul_f64_e32 v[0:1], v[50:51], v[110:111]
	s_delay_alu instid0(VALU_DEP_1) | instskip(SKIP_1) | instid1(VALU_DEP_1)
	v_fma_f64 v[158:159], v[48:49], v[108:109], -v[0:1]
	v_mul_f64_e32 v[0:1], v[48:49], v[110:111]
	v_fma_f64 v[160:161], v[50:51], v[108:109], v[0:1]
	v_mul_f64_e32 v[0:1], v[42:43], v[114:115]
	s_delay_alu instid0(VALU_DEP_1) | instskip(SKIP_1) | instid1(VALU_DEP_1)
	v_fma_f64 v[162:163], v[40:41], v[112:113], -v[0:1]
	v_mul_f64_e32 v[0:1], v[40:41], v[114:115]
	v_fma_f64 v[39:40], v[42:43], v[112:113], v[0:1]
	v_add_nc_u16 v0, v20, 0xf0
	s_delay_alu instid0(VALU_DEP_1) | instskip(NEXT) | instid1(VALU_DEP_1)
	v_and_b32_e32 v1, 0xffff, v0
	v_mul_u32_u24_e32 v1, 0xcccd, v1
	s_delay_alu instid0(VALU_DEP_1) | instskip(NEXT) | instid1(VALU_DEP_1)
	v_lshrrev_b32_e32 v16, 19, v1
	v_mul_lo_u16 v1, v16, 10
	s_delay_alu instid0(VALU_DEP_1) | instskip(NEXT) | instid1(VALU_DEP_1)
	v_sub_nc_u16 v17, v0, v1
	v_mul_lo_u16 v0, 0x50, v17
	v_mad_u16 v16, v16, 60, v17
	s_delay_alu instid0(VALU_DEP_2) | instskip(NEXT) | instid1(VALU_DEP_1)
	v_and_b32_e32 v0, 0xffff, v0
	v_add_co_u32 v14, s1, s2, v0
	s_wait_alu 0xf1ff
	v_add_co_ci_u32_e64 v15, null, s3, 0, s1
	s_clause 0x1
	global_load_b128 v[4:7], v[14:15], off offset:32
	global_load_b128 v[8:11], v[14:15], off offset:64
	s_wait_loadcnt 0x1
	v_mul_f64_e32 v[0:1], v[46:47], v[6:7]
	v_mul_f64_e32 v[2:3], v[44:45], v[6:7]
	s_delay_alu instid0(VALU_DEP_2)
	v_fma_f64 v[0:1], v[44:45], v[4:5], -v[0:1]
	global_load_b128 v[41:44], v[14:15], off
	scratch_store_b128 off, v[4:7], off offset:224 ; 16-byte Folded Spill
	v_fma_f64 v[6:7], v[46:47], v[4:5], v[2:3]
	s_wait_loadcnt 0x1
	v_mul_f64_e32 v[2:3], v[104:105], v[10:11]
	scratch_store_b128 off, v[8:11], off offset:256 ; 16-byte Folded Spill
	v_fma_f64 v[4:5], v[106:107], v[8:9], v[2:3]
	v_mul_f64_e32 v[2:3], v[106:107], v[10:11]
	s_delay_alu instid0(VALU_DEP_1) | instskip(NEXT) | instid1(VALU_DEP_1)
	v_fma_f64 v[2:3], v[104:105], v[8:9], -v[2:3]
	v_add_f64_e32 v[25:26], v[0:1], v[2:3]
	s_wait_loadcnt 0x0
	scratch_store_b128 off, v[41:44], off offset:240 ; 16-byte Folded Spill
	v_mul_f64_e32 v[8:9], v[54:55], v[43:44]
	v_mul_f64_e32 v[10:11], v[52:53], v[43:44]
	s_delay_alu instid0(VALU_DEP_2) | instskip(NEXT) | instid1(VALU_DEP_2)
	v_fma_f64 v[8:9], v[52:53], v[41:42], -v[8:9]
	v_fma_f64 v[10:11], v[54:55], v[41:42], v[10:11]
	global_load_b128 v[41:44], v[14:15], off offset:16
	v_fma_f64 v[25:26], v[25:26], -0.5, v[8:9]
	s_wait_loadcnt 0x0
	v_mul_f64_e32 v[12:13], v[58:59], v[43:44]
	v_mul_f64_e32 v[18:19], v[56:57], v[43:44]
	scratch_store_b128 off, v[41:44], off offset:272 ; 16-byte Folded Spill
	v_fma_f64 v[12:13], v[56:57], v[41:42], -v[12:13]
	v_fma_f64 v[104:105], v[58:59], v[41:42], v[18:19]
	global_load_b128 v[41:44], v[14:15], off offset:48
	s_wait_loadcnt 0x0
	v_mul_f64_e32 v[14:15], v[102:103], v[43:44]
	v_mul_f64_e32 v[18:19], v[100:101], v[43:44]
	scratch_store_b128 off, v[41:44], off offset:288 ; 16-byte Folded Spill
	global_wb scope:SCOPE_SE
	s_wait_storecnt 0x0
	s_barrier_signal -1
	s_barrier_wait -1
	global_inv scope:SCOPE_SE
	v_fma_f64 v[14:15], v[100:101], v[41:42], -v[14:15]
	v_add_f64_e32 v[100:101], v[138:139], v[140:141]
	v_fma_f64 v[18:19], v[102:103], v[41:42], v[18:19]
	v_add_f64_e32 v[41:42], v[136:137], v[27:28]
	v_add_f64_e32 v[102:103], v[126:127], v[138:139]
	s_delay_alu instid0(VALU_DEP_4) | instskip(SKIP_1) | instid1(VALU_DEP_4)
	v_fma_f64 v[106:107], v[100:101], -0.5, v[126:127]
	v_add_f64_e32 v[100:101], v[124:125], v[136:137]
	v_fma_f64 v[41:42], v[41:42], -0.5, v[124:125]
	s_delay_alu instid0(VALU_DEP_4) | instskip(NEXT) | instid1(VALU_DEP_3)
	v_add_f64_e32 v[126:127], v[102:103], v[140:141]
	v_add_f64_e32 v[124:125], v[100:101], v[27:28]
	;; [unrolled: 1-line block ×3, first 2 shown]
	v_add_f64_e64 v[27:28], v[136:137], -v[27:28]
	s_delay_alu instid0(VALU_DEP_2) | instskip(SKIP_1) | instid1(VALU_DEP_1)
	v_add_f64_e32 v[128:129], v[100:101], v[35:36]
	v_add_f64_e32 v[100:101], v[134:135], v[31:32]
	;; [unrolled: 1-line block ×3, first 2 shown]
	s_delay_alu instid0(VALU_DEP_3) | instskip(SKIP_2) | instid1(VALU_DEP_4)
	v_add_f64_e32 v[100:101], v[124:125], v[128:129]
	v_add_f64_e64 v[124:125], v[124:125], -v[128:129]
	v_add_f64_e32 v[128:129], v[158:159], v[162:163]
	v_add_f64_e32 v[102:103], v[126:127], v[130:131]
	v_add_f64_e64 v[126:127], v[126:127], -v[130:131]
	s_delay_alu instid0(VALU_DEP_3) | instskip(SKIP_2) | instid1(VALU_DEP_2)
	v_fma_f64 v[164:165], v[128:129], -0.5, v[120:121]
	v_add_f64_e32 v[128:129], v[160:161], v[39:40]
	v_add_f64_e32 v[120:121], v[120:121], v[158:159]
	v_fma_f64 v[166:167], v[128:129], -0.5, v[122:123]
	s_delay_alu instid0(VALU_DEP_2) | instskip(SKIP_2) | instid1(VALU_DEP_2)
	v_add_f64_e32 v[128:129], v[120:121], v[162:163]
	v_add_f64_e32 v[120:121], v[154:155], v[37:38]
	;; [unrolled: 1-line block ×5, first 2 shown]
	s_delay_alu instid0(VALU_DEP_3) | instskip(NEXT) | instid1(VALU_DEP_2)
	v_add_f64_e32 v[130:131], v[122:123], v[39:40]
	v_add_f64_e32 v[144:145], v[120:121], v[150:151]
	s_delay_alu instid0(VALU_DEP_4)
	v_add_f64_e32 v[120:121], v[128:129], v[142:143]
	v_add_f64_e64 v[128:129], v[128:129], -v[142:143]
	v_add_f64_e32 v[142:143], v[29:30], v[35:36]
	v_add_f64_e64 v[29:30], v[29:30], -v[35:36]
	;; [unrolled: 2-line block ×3, first 2 shown]
	v_add_f64_e64 v[33:34], v[138:139], -v[140:141]
	v_add_f64_e32 v[122:123], v[130:131], v[144:145]
	v_add_f64_e64 v[130:131], v[130:131], -v[144:145]
	s_wait_alu 0xfffe
	v_fma_f64 v[144:145], v[27:28], s[8:9], v[106:107]
	v_fma_f64 v[140:141], v[142:143], -0.5, v[132:133]
	v_fma_f64 v[27:28], v[27:28], s[14:15], v[106:107]
	v_fma_f64 v[35:36], v[35:36], -0.5, v[134:135]
	v_fma_f64 v[142:143], v[33:34], s[14:15], v[41:42]
	v_fma_f64 v[33:34], v[33:34], s[8:9], v[41:42]
	v_fma_f64 v[134:135], v[31:32], s[14:15], v[140:141]
	v_fma_f64 v[31:32], v[31:32], s[8:9], v[140:141]
	v_fma_f64 v[132:133], v[29:30], s[8:9], v[35:36]
	v_fma_f64 v[29:30], v[29:30], s[14:15], v[35:36]
	s_delay_alu instid0(VALU_DEP_3) | instskip(NEXT) | instid1(VALU_DEP_3)
	v_mul_f64_e32 v[35:36], -0.5, v[31:32]
	v_mul_f64_e32 v[136:137], s[14:15], v[132:133]
	s_delay_alu instid0(VALU_DEP_2) | instskip(SKIP_1) | instid1(VALU_DEP_3)
	v_fma_f64 v[35:36], v[29:30], s[14:15], v[35:36]
	v_mul_f64_e32 v[29:30], -0.5, v[29:30]
	v_fma_f64 v[136:137], v[134:135], 0.5, v[136:137]
	v_mul_f64_e32 v[134:135], s[8:9], v[134:135]
	s_delay_alu instid0(VALU_DEP_4) | instskip(NEXT) | instid1(VALU_DEP_4)
	v_add_f64_e32 v[140:141], v[33:34], v[35:36]
	v_fma_f64 v[29:30], v[31:32], s[8:9], v[29:30]
	v_add_f64_e32 v[31:32], v[148:149], v[150:151]
	s_delay_alu instid0(VALU_DEP_4)
	v_fma_f64 v[138:139], v[132:133], 0.5, v[134:135]
	v_add_f64_e32 v[132:133], v[142:143], v[136:137]
	v_add_f64_e64 v[136:137], v[142:143], -v[136:137]
	v_add_f64_e32 v[142:143], v[27:28], v[29:30]
	v_add_f64_e64 v[146:147], v[27:28], -v[29:30]
	;; [unrolled: 2-line block ×3, first 2 shown]
	v_fma_f64 v[31:32], v[31:32], -0.5, v[156:157]
	v_add_f64_e32 v[134:135], v[144:145], v[138:139]
	v_add_f64_e64 v[138:139], v[144:145], -v[138:139]
	v_add_f64_e64 v[144:145], v[33:34], -v[35:36]
	;; [unrolled: 1-line block ×5, first 2 shown]
	ds_store_b128 v24, v[100:103]
	ds_store_b128 v24, v[124:127] offset:480
	ds_store_b128 v24, v[132:135] offset:160
	;; [unrolled: 1-line block ×5, first 2 shown]
	v_fma_f64 v[27:28], v[27:28], -0.5, v[154:155]
	v_fma_f64 v[39:40], v[29:30], s[8:9], v[31:32]
	v_fma_f64 v[29:30], v[29:30], s[14:15], v[31:32]
	;; [unrolled: 1-line block ×5, first 2 shown]
	v_mul_f64_e32 v[106:107], s[14:15], v[39:40]
	v_fma_f64 v[27:28], v[33:34], s[8:9], v[27:28]
	v_fma_f64 v[33:34], v[37:38], s[14:15], v[166:167]
	s_delay_alu instid0(VALU_DEP_3) | instskip(SKIP_1) | instid1(VALU_DEP_1)
	v_fma_f64 v[106:107], v[41:42], 0.5, v[106:107]
	v_mul_f64_e32 v[41:42], s[8:9], v[41:42]
	v_fma_f64 v[39:40], v[39:40], 0.5, v[41:42]
	v_fma_f64 v[41:42], v[35:36], s[14:15], v[164:165]
	v_mul_f64_e32 v[35:36], -0.5, v[27:28]
	s_delay_alu instid0(VALU_DEP_3) | instskip(NEXT) | instid1(VALU_DEP_3)
	v_add_f64_e32 v[150:151], v[154:155], v[39:40]
	v_add_f64_e32 v[148:149], v[41:42], v[106:107]
	s_delay_alu instid0(VALU_DEP_3) | instskip(SKIP_3) | instid1(VALU_DEP_4)
	v_fma_f64 v[35:36], v[29:30], s[14:15], v[35:36]
	v_mul_f64_e32 v[29:30], -0.5, v[29:30]
	v_add_f64_e64 v[152:153], v[41:42], -v[106:107]
	v_add_f64_e64 v[154:155], v[154:155], -v[39:40]
	v_add_f64_e32 v[156:157], v[31:32], v[35:36]
	s_delay_alu instid0(VALU_DEP_4) | instskip(SKIP_3) | instid1(VALU_DEP_4)
	v_fma_f64 v[27:28], v[27:28], s[8:9], v[29:30]
	v_add_f64_e64 v[160:161], v[31:32], -v[35:36]
	v_add_f64_e64 v[31:32], v[0:1], -v[2:3]
	;; [unrolled: 1-line block ×3, first 2 shown]
	v_add_f64_e32 v[158:159], v[33:34], v[27:28]
	v_add_f64_e64 v[162:163], v[33:34], -v[27:28]
	v_add_f64_e64 v[27:28], v[6:7], -v[4:5]
	ds_store_b128 v22, v[120:123]
	ds_store_b128 v22, v[148:151] offset:160
	ds_store_b128 v22, v[156:159] offset:320
	;; [unrolled: 1-line block ×5, first 2 shown]
	scratch_store_b32 off, v16, off offset:216 ; 4-byte Folded Spill
	v_fma_f64 v[29:30], v[27:28], s[8:9], v[25:26]
	v_fma_f64 v[25:26], v[27:28], s[14:15], v[25:26]
	v_add_f64_e32 v[27:28], v[6:7], v[4:5]
	s_delay_alu instid0(VALU_DEP_1) | instskip(NEXT) | instid1(VALU_DEP_1)
	v_fma_f64 v[27:28], v[27:28], -0.5, v[10:11]
	v_fma_f64 v[33:34], v[31:32], s[8:9], v[27:28]
	v_fma_f64 v[27:28], v[31:32], s[14:15], v[27:28]
	v_add_f64_e32 v[31:32], v[12:13], v[14:15]
	s_delay_alu instid0(VALU_DEP_1) | instskip(NEXT) | instid1(VALU_DEP_1)
	v_fma_f64 v[31:32], v[31:32], -0.5, v[96:97]
	v_fma_f64 v[100:101], v[35:36], s[14:15], v[31:32]
	v_fma_f64 v[106:107], v[35:36], s[8:9], v[31:32]
	v_add_f64_e32 v[31:32], v[104:105], v[18:19]
	v_add_f64_e64 v[35:36], v[12:13], -v[14:15]
	s_delay_alu instid0(VALU_DEP_2) | instskip(NEXT) | instid1(VALU_DEP_1)
	v_fma_f64 v[31:32], v[31:32], -0.5, v[98:99]
	v_fma_f64 v[120:121], v[35:36], s[8:9], v[31:32]
	v_fma_f64 v[124:125], v[35:36], s[14:15], v[31:32]
	v_mul_f64_e32 v[31:32], s[14:15], v[33:34]
	s_delay_alu instid0(VALU_DEP_1) | instskip(SKIP_1) | instid1(VALU_DEP_2)
	v_fma_f64 v[102:103], v[25:26], 0.5, v[31:32]
	v_mul_f64_e32 v[25:26], s[8:9], v[25:26]
	v_add_f64_e64 v[204:205], v[100:101], -v[102:103]
	s_delay_alu instid0(VALU_DEP_2) | instskip(SKIP_1) | instid1(VALU_DEP_2)
	v_fma_f64 v[126:127], v[33:34], 0.5, v[25:26]
	v_mul_f64_e32 v[25:26], -0.5, v[29:30]
	v_add_f64_e64 v[206:207], v[120:121], -v[126:127]
	s_delay_alu instid0(VALU_DEP_2) | instskip(SKIP_1) | instid1(VALU_DEP_2)
	v_fma_f64 v[122:123], v[27:28], s[14:15], v[25:26]
	v_mul_f64_e32 v[25:26], -0.5, v[27:28]
	v_add_f64_e64 v[200:201], v[106:107], -v[122:123]
	s_delay_alu instid0(VALU_DEP_2) | instskip(NEXT) | instid1(VALU_DEP_1)
	v_fma_f64 v[128:129], v[29:30], s[8:9], v[25:26]
	v_add_f64_e64 v[202:203], v[124:125], -v[128:129]
	s_and_saveexec_b32 s1, s0
	s_cbranch_execz .LBB0_11
; %bb.10:
	scratch_load_b32 v16, off, off offset:216 ; 4-byte Folded Reload
	v_add_f64_e32 v[25:26], v[98:99], v[104:105]
	v_add_f64_e32 v[6:7], v[10:11], v[6:7]
	;; [unrolled: 1-line block ×4, first 2 shown]
	s_delay_alu instid0(VALU_DEP_4) | instskip(NEXT) | instid1(VALU_DEP_4)
	v_add_f64_e32 v[12:13], v[25:26], v[18:19]
	v_add_f64_e32 v[18:19], v[6:7], v[4:5]
	s_delay_alu instid0(VALU_DEP_4) | instskip(NEXT) | instid1(VALU_DEP_4)
	v_add_f64_e32 v[25:26], v[10:11], v[14:15]
	v_add_f64_e32 v[27:28], v[0:1], v[2:3]
	;; [unrolled: 1-line block ×7, first 2 shown]
	v_add_f64_e64 v[14:15], v[12:13], -v[18:19]
	v_add_f64_e32 v[8:9], v[25:26], v[27:28]
	v_add_f64_e64 v[12:13], v[25:26], -v[27:28]
	s_wait_loadcnt 0x0
	v_and_b32_e32 v16, 0xffff, v16
	s_delay_alu instid0(VALU_DEP_1)
	v_add_lshl_u32 v16, v198, v16, 4
	ds_store_b128 v16, v[8:11]
	ds_store_b128 v16, v[4:7] offset:160
	ds_store_b128 v16, v[0:3] offset:320
	;; [unrolled: 1-line block ×5, first 2 shown]
.LBB0_11:
	s_wait_alu 0xfffe
	s_or_b32 exec_lo, exec_lo, s1
	v_subrev_nc_u32_e32 v0, 60, v20
	v_cmp_gt_u16_e64 s1, 60, v20
	global_wb scope:SCOPE_SE
	s_wait_storecnt_dscnt 0x0
	s_barrier_signal -1
	s_barrier_wait -1
	global_inv scope:SCOPE_SE
	s_wait_alu 0xf1ff
	v_cndmask_b32_e64 v25, v0, v20, s1
	v_mov_b32_e32 v44, v198
	s_mov_b32 s8, 0x667f3bcd
	s_mov_b32 s9, 0xbfe6a09e
	;; [unrolled: 1-line block ×3, first 2 shown]
	v_mul_i32_i24_e32 v0, 0xf0, v25
	v_mul_hi_i32_i24_e32 v1, 0xf0, v25
	s_wait_alu 0xfffe
	s_mov_b32 s14, s8
	s_mov_b32 s16, 0xcf328d46
	s_mov_b32 s17, 0xbfed906b
	v_add_co_u32 v8, s1, s2, v0
	s_wait_alu 0xf1ff
	v_add_co_ci_u32_e64 v9, s1, s3, v1, s1
	s_mov_b32 s23, 0x3fed906b
	s_wait_alu 0xfffe
	s_mov_b32 s22, s16
	s_clause 0x2
	global_load_b128 v[104:107], v[8:9], off offset:800
	global_load_b128 v[100:103], v[8:9], off offset:816
	;; [unrolled: 1-line block ×3, first 2 shown]
	ds_load_b128 v[0:3], v21 offset:1920
	ds_load_b128 v[4:7], v21 offset:3840
	s_clause 0xb
	global_load_b128 v[120:123], v[8:9], off offset:848
	global_load_b128 v[124:127], v[8:9], off offset:864
	;; [unrolled: 1-line block ×12, first 2 shown]
	scratch_load_b32 v17, off, off          ; 4-byte Folded Reload
	s_mov_b32 s18, 0xa6aea964
	s_mov_b32 s19, 0xbfd87de2
	;; [unrolled: 1-line block ×3, first 2 shown]
	s_wait_alu 0xfffe
	s_mov_b32 s20, s18
	v_cmp_lt_u16_e64 s1, 59, v20
	scratch_store_b32 off, v44, off offset:12 ; 4-byte Folded Spill
	s_wait_alu 0xf1ff
	v_cndmask_b32_e64 v16, 0, 0x3c0, s1
	s_delay_alu instid0(VALU_DEP_1) | instskip(NEXT) | instid1(VALU_DEP_1)
	v_or_b32_e32 v16, v25, v16
	v_add_lshl_u32 v25, v44, v16, 4
	s_wait_loadcnt_dscnt 0xf01
	v_mul_f64_e32 v[10:11], v[2:3], v[106:107]
	v_mul_f64_e32 v[12:13], v[0:1], v[106:107]
	s_wait_loadcnt_dscnt 0xe00
	v_mul_f64_e32 v[14:15], v[6:7], v[102:103]
	v_mul_f64_e32 v[18:19], v[4:5], v[102:103]
	s_delay_alu instid0(VALU_DEP_4) | instskip(NEXT) | instid1(VALU_DEP_4)
	v_fma_f64 v[26:27], v[0:1], v[104:105], -v[10:11]
	v_fma_f64 v[28:29], v[2:3], v[104:105], v[12:13]
	ds_load_b128 v[0:3], v21 offset:5760
	v_fma_f64 v[30:31], v[4:5], v[100:101], -v[14:15]
	v_fma_f64 v[32:33], v[6:7], v[100:101], v[18:19]
	s_wait_loadcnt_dscnt 0xd00
	v_mul_f64_e32 v[4:5], v[2:3], v[98:99]
	v_mul_f64_e32 v[6:7], v[0:1], v[98:99]
	s_delay_alu instid0(VALU_DEP_2) | instskip(NEXT) | instid1(VALU_DEP_2)
	v_fma_f64 v[34:35], v[0:1], v[96:97], -v[4:5]
	v_fma_f64 v[36:37], v[2:3], v[96:97], v[6:7]
	ds_load_b128 v[0:3], v21 offset:7680
	s_wait_loadcnt_dscnt 0xc00
	v_mul_f64_e32 v[4:5], v[2:3], v[122:123]
	s_delay_alu instid0(VALU_DEP_1) | instskip(SKIP_1) | instid1(VALU_DEP_1)
	v_fma_f64 v[38:39], v[0:1], v[120:121], -v[4:5]
	v_mul_f64_e32 v[0:1], v[0:1], v[122:123]
	v_fma_f64 v[40:41], v[2:3], v[120:121], v[0:1]
	ds_load_b128 v[0:3], v21 offset:9600
	s_wait_loadcnt_dscnt 0xb00
	v_mul_f64_e32 v[4:5], v[2:3], v[126:127]
	s_delay_alu instid0(VALU_DEP_1) | instskip(SKIP_1) | instid1(VALU_DEP_1)
	v_fma_f64 v[42:43], v[0:1], v[124:125], -v[4:5]
	v_mul_f64_e32 v[0:1], v[0:1], v[126:127]
	;; [unrolled: 7-line block ×5, first 2 shown]
	v_fma_f64 v[12:13], v[2:3], v[136:137], v[0:1]
	ds_load_b128 v[0:3], v21 offset:23040
	s_wait_loadcnt_dscnt 0x600
	v_mul_f64_e32 v[4:5], v[2:3], v[142:143]
	s_delay_alu instid0(VALU_DEP_1) | instskip(SKIP_1) | instid1(VALU_DEP_2)
	v_fma_f64 v[14:15], v[0:1], v[140:141], -v[4:5]
	v_mul_f64_e32 v[0:1], v[0:1], v[142:143]
	v_add_f64_e64 v[216:217], v[38:39], -v[14:15]
	s_delay_alu instid0(VALU_DEP_2)
	v_fma_f64 v[170:171], v[2:3], v[140:141], v[0:1]
	ds_load_b128 v[0:3], v21 offset:19200
	s_wait_loadcnt_dscnt 0x400
	v_mul_f64_e32 v[4:5], v[2:3], v[146:147]
	v_fma_f64 v[38:39], v[38:39], 2.0, -v[216:217]
	v_add_f64_e64 v[218:219], v[40:41], -v[170:171]
	s_delay_alu instid0(VALU_DEP_3) | instskip(SKIP_1) | instid1(VALU_DEP_3)
	v_fma_f64 v[172:173], v[0:1], v[144:145], -v[4:5]
	v_mul_f64_e32 v[0:1], v[0:1], v[146:147]
	v_fma_f64 v[40:41], v[40:41], 2.0, -v[218:219]
	s_delay_alu instid0(VALU_DEP_2) | instskip(SKIP_3) | instid1(VALU_DEP_1)
	v_fma_f64 v[180:181], v[2:3], v[144:145], v[0:1]
	ds_load_b128 v[0:3], v21 offset:26880
	s_wait_loadcnt_dscnt 0x200
	v_mul_f64_e32 v[4:5], v[2:3], v[150:151]
	v_fma_f64 v[186:187], v[0:1], v[148:149], -v[4:5]
	v_mul_f64_e32 v[0:1], v[0:1], v[150:151]
	s_delay_alu instid0(VALU_DEP_2) | instskip(NEXT) | instid1(VALU_DEP_2)
	v_add_f64_e64 v[220:221], v[174:175], -v[186:187]
	v_fma_f64 v[188:189], v[2:3], v[148:149], v[0:1]
	ds_load_b128 v[0:3], v21 offset:17280
	s_wait_dscnt 0x0
	v_mul_f64_e32 v[4:5], v[2:3], v[154:155]
	v_add_f64_e64 v[222:223], v[176:177], -v[188:189]
	s_delay_alu instid0(VALU_DEP_2) | instskip(SKIP_1) | instid1(VALU_DEP_1)
	v_fma_f64 v[190:191], v[0:1], v[152:153], -v[4:5]
	v_mul_f64_e32 v[0:1], v[0:1], v[154:155]
	v_fma_f64 v[192:193], v[2:3], v[152:153], v[0:1]
	ds_load_b128 v[0:3], v21 offset:24960
	s_wait_dscnt 0x0
	v_mul_f64_e32 v[4:5], v[2:3], v[158:159]
	v_add_f64_e64 v[8:9], v[28:29], -v[192:193]
	s_delay_alu instid0(VALU_DEP_2) | instskip(SKIP_1) | instid1(VALU_DEP_2)
	v_fma_f64 v[194:195], v[0:1], v[156:157], -v[4:5]
	v_mul_f64_e32 v[0:1], v[0:1], v[158:159]
	v_add_f64_e64 v[224:225], v[42:43], -v[194:195]
	s_delay_alu instid0(VALU_DEP_2)
	v_fma_f64 v[196:197], v[2:3], v[156:157], v[0:1]
	ds_load_b128 v[0:3], v21 offset:21120
	s_wait_dscnt 0x0
	v_mul_f64_e32 v[4:5], v[2:3], v[162:163]
	v_add_f64_e32 v[230:231], v[8:9], v[224:225]
	v_add_f64_e64 v[226:227], v[178:179], -v[196:197]
	s_delay_alu instid0(VALU_DEP_3) | instskip(SKIP_1) | instid1(VALU_DEP_2)
	v_fma_f64 v[198:199], v[0:1], v[160:161], -v[4:5]
	v_mul_f64_e32 v[0:1], v[0:1], v[162:163]
	v_add_f64_e64 v[14:15], v[34:35], -v[198:199]
	s_delay_alu instid0(VALU_DEP_2) | instskip(SKIP_3) | instid1(VALU_DEP_1)
	v_fma_f64 v[208:209], v[2:3], v[160:161], v[0:1]
	ds_load_b128 v[0:3], v21 offset:28800
	s_wait_loadcnt_dscnt 0x100
	v_mul_f64_e32 v[4:5], v[0:1], v[166:167]
	v_fma_f64 v[210:211], v[2:3], v[164:165], v[4:5]
	v_mul_f64_e32 v[2:3], v[2:3], v[166:167]
	s_wait_loadcnt 0x0
	ds_load_b128 v[4:7], v17
	global_wb scope:SCOPE_SE
	s_wait_storecnt_dscnt 0x0
	s_barrier_signal -1
	s_barrier_wait -1
	global_inv scope:SCOPE_SE
	v_add_f64_e64 v[198:199], v[184:185], -v[210:211]
	v_fma_f64 v[212:213], v[0:1], v[164:165], -v[2:3]
	v_add_f64_e64 v[0:1], v[4:5], -v[10:11]
	v_add_f64_e64 v[2:3], v[6:7], -v[12:13]
	;; [unrolled: 1-line block ×5, first 2 shown]
	v_fma_f64 v[18:19], v[4:5], 2.0, -v[0:1]
	v_fma_f64 v[168:169], v[6:7], 2.0, -v[2:3]
	v_add_f64_e64 v[4:5], v[30:31], -v[172:173]
	v_add_f64_e64 v[6:7], v[32:33], -v[180:181]
	v_fma_f64 v[180:181], v[36:37], 2.0, -v[10:11]
	v_fma_f64 v[36:37], v[182:183], 2.0, -v[228:229]
	v_add_f64_e64 v[182:183], v[18:19], -v[38:39]
	v_add_f64_e32 v[228:229], v[10:11], v[228:229]
	v_fma_f64 v[170:171], v[30:31], 2.0, -v[4:5]
	v_fma_f64 v[172:173], v[32:33], 2.0, -v[6:7]
	;; [unrolled: 1-line block ×10, first 2 shown]
	v_add_f64_e64 v[184:185], v[168:169], -v[40:41]
	v_add_f64_e64 v[42:43], v[12:13], -v[226:227]
	;; [unrolled: 1-line block ×3, first 2 shown]
	v_fma_f64 v[18:19], v[18:19], 2.0, -v[182:183]
	v_add_f64_e64 v[186:187], v[170:171], -v[30:31]
	v_add_f64_e64 v[188:189], v[172:173], -v[32:33]
	;; [unrolled: 1-line block ×6, first 2 shown]
	v_fma_f64 v[12:13], v[12:13], 2.0, -v[42:43]
	v_fma_f64 v[14:15], v[14:15], 2.0, -v[198:199]
	v_add_f64_e32 v[28:29], v[184:185], v[186:187]
	v_add_f64_e64 v[26:27], v[182:183], -v[188:189]
	v_fma_f64 v[176:177], v[176:177], 2.0, -v[192:193]
	v_add_f64_e32 v[32:33], v[192:193], v[194:195]
	v_add_f64_e64 v[30:31], v[190:191], -v[196:197]
	s_delay_alu instid0(VALU_DEP_2) | instskip(NEXT) | instid1(VALU_DEP_2)
	v_fma_f64 v[36:37], v[32:33], s[14:15], v[28:29]
	v_fma_f64 v[34:35], v[30:31], s[14:15], v[26:27]
	s_delay_alu instid0(VALU_DEP_2) | instskip(NEXT) | instid1(VALU_DEP_2)
	v_fma_f64 v[210:211], v[30:31], s[14:15], v[36:37]
	v_fma_f64 v[208:209], v[32:33], s[8:9], v[34:35]
	v_fma_f64 v[30:31], v[190:191], 2.0, -v[30:31]
	v_fma_f64 v[32:33], v[192:193], 2.0, -v[32:33]
	;; [unrolled: 1-line block ×5, first 2 shown]
	s_delay_alu instid0(VALU_DEP_3) | instskip(NEXT) | instid1(VALU_DEP_3)
	v_fma_f64 v[38:39], v[30:31], s[8:9], v[34:35]
	v_fma_f64 v[40:41], v[32:33], s[8:9], v[36:37]
	s_delay_alu instid0(VALU_DEP_2) | instskip(NEXT) | instid1(VALU_DEP_2)
	v_fma_f64 v[212:213], v[32:33], s[8:9], v[38:39]
	v_fma_f64 v[214:215], v[30:31], s[14:15], v[40:41]
	v_add_f64_e64 v[30:31], v[0:1], -v[218:219]
	v_add_f64_e64 v[32:33], v[4:5], -v[222:223]
	v_add_f64_e32 v[38:39], v[2:3], v[216:217]
	v_add_f64_e32 v[40:41], v[6:7], v[220:221]
	s_delay_alu instid0(VALU_DEP_3) | instskip(NEXT) | instid1(VALU_DEP_1)
	v_fma_f64 v[216:217], v[32:33], s[14:15], v[30:31]
	v_fma_f64 v[232:233], v[40:41], s[8:9], v[216:217]
	s_delay_alu instid0(VALU_DEP_4) | instskip(NEXT) | instid1(VALU_DEP_2)
	v_fma_f64 v[216:217], v[40:41], s[14:15], v[38:39]
	v_fma_f64 v[236:237], v[30:31], 2.0, -v[232:233]
	s_delay_alu instid0(VALU_DEP_2)
	v_fma_f64 v[234:235], v[32:33], s[14:15], v[216:217]
	v_fma_f64 v[216:217], v[198:199], s[14:15], v[42:43]
	v_fma_f64 v[30:31], v[0:1], 2.0, -v[30:31]
	v_fma_f64 v[0:1], v[4:5], 2.0, -v[32:33]
	;; [unrolled: 1-line block ×3, first 2 shown]
	v_fma_f64 v[8:9], v[14:15], s[8:9], v[12:13]
	v_fma_f64 v[238:239], v[38:39], 2.0, -v[234:235]
	v_fma_f64 v[220:221], v[228:229], s[8:9], v[216:217]
	v_fma_f64 v[216:217], v[228:229], s[14:15], v[230:231]
	v_fma_f64 v[38:39], v[2:3], 2.0, -v[38:39]
	v_fma_f64 v[2:3], v[6:7], 2.0, -v[40:41]
	;; [unrolled: 1-line block ×4, first 2 shown]
	v_fma_f64 v[222:223], v[198:199], s[14:15], v[216:217]
	v_fma_f64 v[216:217], v[220:221], s[22:23], v[232:233]
	;; [unrolled: 1-line block ×10, first 2 shown]
	v_fma_f64 v[10:11], v[12:13], 2.0, -v[8:9]
	s_wait_alu 0xfffe
	v_fma_f64 v[218:219], v[220:221], s[20:21], v[218:219]
	v_fma_f64 v[220:221], v[230:231], 2.0, -v[222:223]
	v_fma_f64 v[222:223], v[224:225], s[18:19], v[236:237]
	v_fma_f64 v[40:41], v[2:3], s[8:9], v[0:1]
	v_fma_f64 v[0:1], v[6:7], s[20:21], v[32:33]
	v_fma_f64 v[4:5], v[4:5], 2.0, -v[6:7]
	v_fma_f64 v[38:39], v[38:39], 2.0, -v[32:33]
	ds_store_b128 v25, v[216:219] offset:14400
	v_fma_f64 v[226:227], v[220:221], s[18:19], v[238:239]
	v_fma_f64 v[220:221], v[220:221], s[16:17], v[222:223]
	;; [unrolled: 1-line block ×4, first 2 shown]
	v_fma_f64 v[30:31], v[30:31], 2.0, -v[40:41]
	v_fma_f64 v[8:9], v[4:5], s[16:17], v[38:39]
	v_fma_f64 v[222:223], v[224:225], s[22:23], v[226:227]
	v_fma_f64 v[224:225], v[26:27], 2.0, -v[208:209]
	v_fma_f64 v[226:227], v[28:29], 2.0, -v[210:211]
	;; [unrolled: 1-line block ×7, first 2 shown]
	v_fma_f64 v[0:1], v[6:7], s[16:17], v[12:13]
	v_fma_f64 v[6:7], v[10:11], s[16:17], v[30:31]
	v_fma_f64 v[12:13], v[236:237], 2.0, -v[220:221]
	v_fma_f64 v[14:15], v[238:239], 2.0, -v[222:223]
	v_add_f64_e64 v[28:29], v[18:19], -v[28:29]
	v_add_f64_e64 v[178:179], v[26:27], -v[168:169]
	v_add_f64_e64 v[180:181], v[176:177], -v[170:171]
	v_add_f64_e64 v[184:185], v[182:183], -v[172:173]
	v_fma_f64 v[4:5], v[4:5], s[18:19], v[6:7]
	v_fma_f64 v[6:7], v[10:11], s[20:21], v[8:9]
	v_fma_f64 v[8:9], v[34:35], 2.0, -v[212:213]
	v_fma_f64 v[10:11], v[36:37], 2.0, -v[214:215]
	;; [unrolled: 1-line block ×4, first 2 shown]
	v_add_f64_e64 v[168:169], v[28:29], -v[180:181]
	v_add_f64_e32 v[170:171], v[178:179], v[184:185]
	ds_store_b128 v25, v[208:211] offset:13440
	v_fma_f64 v[208:209], v[232:233], 2.0, -v[216:217]
	v_fma_f64 v[210:211], v[234:235], 2.0, -v[218:219]
	;; [unrolled: 1-line block ×3, first 2 shown]
	ds_store_b128 v25, v[168:171] offset:11520
	v_fma_f64 v[174:175], v[178:179], 2.0, -v[170:171]
	ds_store_b128 v25, v[224:227] offset:5760
	ds_store_b128 v25, v[208:211] offset:6720
	;; [unrolled: 1-line block ×4, first 2 shown]
	v_fma_f64 v[168:169], v[40:41], 2.0, -v[0:1]
	v_fma_f64 v[170:171], v[32:33], 2.0, -v[2:3]
	ds_store_b128 v25, v[0:3] offset:12480
	ds_store_b128 v25, v[172:175] offset:3840
	v_fma_f64 v[0:1], v[182:183], 2.0, -v[184:185]
	v_fma_f64 v[2:3], v[176:177], 2.0, -v[180:181]
	s_delay_alu instid0(VALU_DEP_2) | instskip(NEXT) | instid1(VALU_DEP_2)
	v_add_f64_e64 v[0:1], v[18:19], -v[0:1]
	v_add_f64_e64 v[2:3], v[26:27], -v[2:3]
	ds_store_b128 v25, v[0:3] offset:7680
	ds_store_b128 v25, v[8:11] offset:1920
	;; [unrolled: 1-line block ×4, first 2 shown]
	v_fma_f64 v[172:173], v[18:19], 2.0, -v[0:1]
	v_fma_f64 v[174:175], v[26:27], 2.0, -v[2:3]
	;; [unrolled: 1-line block ×4, first 2 shown]
	ds_store_b128 v25, v[4:7] offset:8640
	ds_store_b128 v25, v[172:175]
	ds_store_b128 v25, v[0:3] offset:960
	v_lshlrev_b32_e32 v0, 4, v20
	global_wb scope:SCOPE_SE
	s_wait_dscnt 0x0
	s_barrier_signal -1
	s_barrier_wait -1
	global_inv scope:SCOPE_SE
	s_clause 0x3
	global_load_b128 v[168:171], v0, s[2:3] offset:15200
	global_load_b128 v[172:175], v0, s[2:3] offset:17120
	;; [unrolled: 1-line block ×4, first 2 shown]
	ds_load_b128 v[1:4], v21 offset:15360
	s_clause 0x1
	global_load_b128 v[184:187], v0, s[2:3] offset:22880
	global_load_b128 v[188:191], v0, s[2:3] offset:24800
	ds_load_b128 v[208:211], v21 offset:3840
	ds_load_b128 v[220:223], v21 offset:11520
	s_clause 0x1
	global_load_b128 v[192:195], v0, s[2:3] offset:26720
	global_load_b128 v[196:199], v0, s[2:3] offset:28640
	s_add_nc_u64 s[2:3], s[12:13], 0x7800
	ds_load_b128 v[224:227], v21 offset:13440
	s_wait_loadcnt_dscnt 0x703
	v_mul_f64_e32 v[5:6], v[3:4], v[170:171]
	s_delay_alu instid0(VALU_DEP_1) | instskip(SKIP_1) | instid1(VALU_DEP_1)
	v_fma_f64 v[5:6], v[1:2], v[168:169], -v[5:6]
	v_mul_f64_e32 v[1:2], v[1:2], v[170:171]
	v_fma_f64 v[7:8], v[3:4], v[168:169], v[1:2]
	ds_load_b128 v[1:4], v21 offset:17280
	s_wait_loadcnt_dscnt 0x600
	v_mul_f64_e32 v[9:10], v[3:4], v[174:175]
	s_delay_alu instid0(VALU_DEP_1) | instskip(SKIP_1) | instid1(VALU_DEP_1)
	v_fma_f64 v[13:14], v[1:2], v[172:173], -v[9:10]
	v_mul_f64_e32 v[1:2], v[1:2], v[174:175]
	v_fma_f64 v[18:19], v[3:4], v[172:173], v[1:2]
	ds_load_b128 v[1:4], v21 offset:19200
	s_wait_loadcnt_dscnt 0x500
	v_mul_f64_e32 v[9:10], v[3:4], v[178:179]
	s_delay_alu instid0(VALU_DEP_1) | instskip(SKIP_1) | instid1(VALU_DEP_2)
	v_fma_f64 v[26:27], v[1:2], v[176:177], -v[9:10]
	v_mul_f64_e32 v[1:2], v[1:2], v[178:179]
	v_add_f64_e64 v[236:237], v[208:209], -v[26:27]
	s_delay_alu instid0(VALU_DEP_2)
	v_fma_f64 v[28:29], v[3:4], v[176:177], v[1:2]
	ds_load_b128 v[1:4], v21 offset:21120
	s_wait_loadcnt_dscnt 0x400
	v_mul_f64_e32 v[9:10], v[3:4], v[182:183]
	v_fma_f64 v[240:241], v[208:209], 2.0, -v[236:237]
	v_add_f64_e64 v[238:239], v[210:211], -v[28:29]
	s_delay_alu instid0(VALU_DEP_3) | instskip(SKIP_1) | instid1(VALU_DEP_3)
	v_fma_f64 v[30:31], v[1:2], v[180:181], -v[9:10]
	v_mul_f64_e32 v[1:2], v[1:2], v[182:183]
	v_fma_f64 v[242:243], v[210:211], 2.0, -v[238:239]
	ds_load_b128 v[208:211], v21 offset:5760
	s_wait_dscnt 0x0
	v_add_f64_e64 v[244:245], v[208:209], -v[30:31]
	v_fma_f64 v[32:33], v[3:4], v[180:181], v[1:2]
	ds_load_b128 v[1:4], v21 offset:23040
	v_fma_f64 v[248:249], v[208:209], 2.0, -v[244:245]
	v_add_f64_e64 v[246:247], v[210:211], -v[32:33]
	s_delay_alu instid0(VALU_DEP_1) | instskip(SKIP_3) | instid1(VALU_DEP_1)
	v_fma_f64 v[250:251], v[210:211], 2.0, -v[246:247]
	ds_load_b128 v[208:211], v21 offset:7680
	s_wait_loadcnt_dscnt 0x301
	v_mul_f64_e32 v[9:10], v[3:4], v[186:187]
	v_fma_f64 v[34:35], v[1:2], v[184:185], -v[9:10]
	v_mul_f64_e32 v[1:2], v[1:2], v[186:187]
	s_wait_dscnt 0x0
	s_delay_alu instid0(VALU_DEP_2) | instskip(NEXT) | instid1(VALU_DEP_2)
	v_add_f64_e64 v[252:253], v[208:209], -v[34:35]
	v_fma_f64 v[36:37], v[3:4], v[184:185], v[1:2]
	ds_load_b128 v[1:4], v21 offset:24960
	v_fma_f64 v[26:27], v[208:209], 2.0, -v[252:253]
	v_add_f64_e64 v[254:255], v[210:211], -v[36:37]
	s_delay_alu instid0(VALU_DEP_1) | instskip(SKIP_3) | instid1(VALU_DEP_1)
	v_fma_f64 v[28:29], v[210:211], 2.0, -v[254:255]
	ds_load_b128 v[208:211], v21 offset:9600
	s_wait_loadcnt_dscnt 0x201
	v_mul_f64_e32 v[9:10], v[3:4], v[190:191]
	v_fma_f64 v[38:39], v[1:2], v[188:189], -v[9:10]
	v_mul_f64_e32 v[1:2], v[1:2], v[190:191]
	s_wait_dscnt 0x0
	s_delay_alu instid0(VALU_DEP_2) | instskip(NEXT) | instid1(VALU_DEP_2)
	v_add_f64_e64 v[212:213], v[208:209], -v[38:39]
	v_fma_f64 v[40:41], v[3:4], v[188:189], v[1:2]
	ds_load_b128 v[1:4], v21 offset:26880
	s_wait_loadcnt_dscnt 0x100
	v_mul_f64_e32 v[9:10], v[3:4], v[194:195]
	v_fma_f64 v[208:209], v[208:209], 2.0, -v[212:213]
	v_add_f64_e64 v[214:215], v[210:211], -v[40:41]
	s_delay_alu instid0(VALU_DEP_3) | instskip(SKIP_1) | instid1(VALU_DEP_3)
	v_fma_f64 v[42:43], v[1:2], v[192:193], -v[9:10]
	v_mul_f64_e32 v[1:2], v[1:2], v[194:195]
	v_fma_f64 v[210:211], v[210:211], 2.0, -v[214:215]
	s_delay_alu instid0(VALU_DEP_3) | instskip(NEXT) | instid1(VALU_DEP_3)
	v_add_f64_e64 v[216:217], v[220:221], -v[42:43]
	v_fma_f64 v[218:219], v[3:4], v[192:193], v[1:2]
	ds_load_b128 v[1:4], v21 offset:28800
	s_wait_loadcnt_dscnt 0x0
	v_mul_f64_e32 v[9:10], v[3:4], v[198:199]
	v_fma_f64 v[220:221], v[220:221], 2.0, -v[216:217]
	v_add_f64_e64 v[218:219], v[222:223], -v[218:219]
	s_delay_alu instid0(VALU_DEP_3)
	v_fma_f64 v[228:229], v[1:2], v[196:197], -v[9:10]
	v_mul_f64_e32 v[1:2], v[1:2], v[198:199]
	ds_load_b128 v[9:12], v21 offset:1920
	v_fma_f64 v[222:223], v[222:223], 2.0, -v[218:219]
	s_wait_dscnt 0x0
	v_add_f64_e64 v[232:233], v[9:10], -v[13:14]
	v_add_f64_e64 v[234:235], v[11:12], -v[18:19]
	;; [unrolled: 1-line block ×3, first 2 shown]
	v_fma_f64 v[230:231], v[3:4], v[196:197], v[1:2]
	ds_load_b128 v[1:4], v17
	s_wait_dscnt 0x0
	v_add_f64_e64 v[5:6], v[1:2], -v[5:6]
	v_add_f64_e64 v[7:8], v[3:4], -v[7:8]
	v_fma_f64 v[9:10], v[9:10], 2.0, -v[232:233]
	v_fma_f64 v[11:12], v[11:12], 2.0, -v[234:235]
	;; [unrolled: 1-line block ×3, first 2 shown]
	v_add_f64_e64 v[230:231], v[226:227], -v[230:231]
	v_fma_f64 v[1:2], v[1:2], 2.0, -v[5:6]
	v_fma_f64 v[3:4], v[3:4], 2.0, -v[7:8]
	s_delay_alu instid0(VALU_DEP_3)
	v_fma_f64 v[226:227], v[226:227], 2.0, -v[230:231]
	ds_store_b128 v17, v[1:4]
	ds_store_b128 v21, v[9:12] offset:1920
	ds_store_b128 v21, v[240:243] offset:3840
	;; [unrolled: 1-line block ×15, first 2 shown]
	global_wb scope:SCOPE_SE
	s_wait_dscnt 0x0
	s_barrier_signal -1
	s_barrier_wait -1
	global_inv scope:SCOPE_SE
	scratch_load_b64 v[1:2], off, off offset:4 ; 8-byte Folded Reload
	ds_load_b128 v[5:8], v17
	global_load_b128 v[26:29], v0, s[2:3] offset:9216
	s_wait_loadcnt 0x1
	global_load_b128 v[1:4], v[1:2], off offset:30720
	s_wait_loadcnt_dscnt 0x0
	v_mul_f64_e32 v[9:10], v[7:8], v[3:4]
	v_mul_f64_e32 v[11:12], v[5:6], v[3:4]
	s_delay_alu instid0(VALU_DEP_2) | instskip(NEXT) | instid1(VALU_DEP_2)
	v_fma_f64 v[3:4], v[5:6], v[1:2], -v[9:10]
	v_fma_f64 v[5:6], v[7:8], v[1:2], v[11:12]
	ds_store_b128 v17, v[3:6]
	global_load_b128 v[1:4], v0, s[2:3] offset:3072
	ds_load_b128 v[5:8], v21 offset:3072
	ds_load_b128 v[232:235], v21 offset:9216
	;; [unrolled: 1-line block ×8, first 2 shown]
	s_wait_loadcnt_dscnt 0x7
	v_mul_f64_e32 v[9:10], v[7:8], v[3:4]
	v_mul_f64_e32 v[11:12], v[5:6], v[3:4]
	s_delay_alu instid0(VALU_DEP_2) | instskip(NEXT) | instid1(VALU_DEP_2)
	v_fma_f64 v[3:4], v[5:6], v[1:2], -v[9:10]
	v_fma_f64 v[5:6], v[7:8], v[1:2], v[11:12]
	global_load_b128 v[7:10], v0, s[2:3] offset:6144
	ds_load_b128 v[11:14], v21 offset:6144
	s_wait_loadcnt_dscnt 0x0
	v_mul_f64_e32 v[1:2], v[13:14], v[9:10]
	v_mul_f64_e32 v[18:19], v[11:12], v[9:10]
	s_delay_alu instid0(VALU_DEP_2) | instskip(NEXT) | instid1(VALU_DEP_2)
	v_fma_f64 v[9:10], v[11:12], v[7:8], -v[1:2]
	v_fma_f64 v[11:12], v[13:14], v[7:8], v[18:19]
	v_mul_f64_e32 v[1:2], v[234:235], v[28:29]
	v_mul_f64_e32 v[7:8], v[232:233], v[28:29]
	s_delay_alu instid0(VALU_DEP_2) | instskip(NEXT) | instid1(VALU_DEP_2)
	v_fma_f64 v[28:29], v[232:233], v[26:27], -v[1:2]
	v_fma_f64 v[30:31], v[234:235], v[26:27], v[7:8]
	global_load_b128 v[232:235], v0, s[2:3] offset:12288
	s_wait_loadcnt 0x0
	v_mul_f64_e32 v[1:2], v[238:239], v[234:235]
	v_mul_f64_e32 v[7:8], v[236:237], v[234:235]
	s_delay_alu instid0(VALU_DEP_2) | instskip(NEXT) | instid1(VALU_DEP_2)
	v_fma_f64 v[234:235], v[236:237], v[232:233], -v[1:2]
	v_fma_f64 v[236:237], v[238:239], v[232:233], v[7:8]
	global_load_b128 v[238:241], v0, s[2:3] offset:15360
	s_wait_loadcnt 0x0
	;; [unrolled: 7-line block ×6, first 2 shown]
	v_mul_f64_e32 v[1:2], v[42:43], v[252:253]
	v_mul_f64_e32 v[7:8], v[40:41], v[252:253]
	s_delay_alu instid0(VALU_DEP_2) | instskip(NEXT) | instid1(VALU_DEP_2)
	v_fma_f64 v[40:41], v[40:41], v[250:251], -v[1:2]
	v_fma_f64 v[42:43], v[42:43], v[250:251], v[7:8]
	ds_store_b128 v21, v[3:6] offset:3072
	ds_store_b128 v21, v[9:12] offset:6144
	;; [unrolled: 1-line block ×9, first 2 shown]
	s_and_saveexec_b32 s1, vcc_lo
	s_cbranch_execz .LBB0_13
; %bb.12:
	s_wait_alu 0xfffe
	v_add_co_u32 v18, s2, s2, v0
	s_wait_alu 0xf1ff
	v_add_co_ci_u32_e64 v19, null, s3, 0, s2
	s_clause 0x5
	global_load_b128 v[0:3], v[18:19], off offset:1920
	global_load_b128 v[4:7], v[18:19], off offset:4992
	;; [unrolled: 1-line block ×6, first 2 shown]
	ds_load_b128 v[30:33], v21 offset:1920
	ds_load_b128 v[236:239], v21 offset:26496
	;; [unrolled: 1-line block ×3, first 2 shown]
	s_wait_loadcnt_dscnt 0x502
	v_mul_f64_e32 v[38:39], v[32:33], v[2:3]
	v_mul_f64_e32 v[2:3], v[30:31], v[2:3]
	s_delay_alu instid0(VALU_DEP_2) | instskip(NEXT) | instid1(VALU_DEP_2)
	v_fma_f64 v[30:31], v[30:31], v[0:1], -v[38:39]
	v_fma_f64 v[32:33], v[32:33], v[0:1], v[2:3]
	ds_load_b128 v[0:3], v21 offset:4992
	s_wait_loadcnt_dscnt 0x400
	v_mul_f64_e32 v[38:39], v[2:3], v[6:7]
	v_mul_f64_e32 v[6:7], v[0:1], v[6:7]
	s_delay_alu instid0(VALU_DEP_2) | instskip(NEXT) | instid1(VALU_DEP_2)
	v_fma_f64 v[0:1], v[0:1], v[4:5], -v[38:39]
	v_fma_f64 v[2:3], v[2:3], v[4:5], v[6:7]
	ds_load_b128 v[4:7], v21 offset:8064
	;; [unrolled: 7-line block ×5, first 2 shown]
	s_wait_loadcnt_dscnt 0x0
	v_mul_f64_e32 v[38:39], v[28:29], v[36:37]
	v_mul_f64_e32 v[36:37], v[26:27], v[36:37]
	s_delay_alu instid0(VALU_DEP_2) | instskip(NEXT) | instid1(VALU_DEP_2)
	v_fma_f64 v[26:27], v[26:27], v[34:35], -v[38:39]
	v_fma_f64 v[28:29], v[28:29], v[34:35], v[36:37]
	global_load_b128 v[34:37], v[18:19], off offset:20352
	ds_load_b128 v[38:41], v21 offset:20352
	s_wait_loadcnt_dscnt 0x0
	v_mul_f64_e32 v[42:43], v[40:41], v[36:37]
	v_mul_f64_e32 v[232:233], v[38:39], v[36:37]
	s_delay_alu instid0(VALU_DEP_2) | instskip(NEXT) | instid1(VALU_DEP_2)
	v_fma_f64 v[36:37], v[38:39], v[34:35], -v[42:43]
	v_fma_f64 v[38:39], v[40:41], v[34:35], v[232:233]
	global_load_b128 v[40:43], v[18:19], off offset:23424
	ds_load_b128 v[232:235], v21 offset:23424
	s_wait_loadcnt_dscnt 0x0
	v_mul_f64_e32 v[34:35], v[234:235], v[42:43]
	v_mul_f64_e32 v[42:43], v[232:233], v[42:43]
	s_delay_alu instid0(VALU_DEP_2) | instskip(NEXT) | instid1(VALU_DEP_2)
	v_fma_f64 v[232:233], v[232:233], v[40:41], -v[34:35]
	v_fma_f64 v[234:235], v[234:235], v[40:41], v[42:43]
	global_load_b128 v[40:43], v[18:19], off offset:26496
	s_wait_loadcnt 0x0
	v_mul_f64_e32 v[34:35], v[238:239], v[42:43]
	v_mul_f64_e32 v[42:43], v[236:237], v[42:43]
	s_delay_alu instid0(VALU_DEP_2) | instskip(NEXT) | instid1(VALU_DEP_2)
	v_fma_f64 v[236:237], v[236:237], v[40:41], -v[34:35]
	v_fma_f64 v[238:239], v[238:239], v[40:41], v[42:43]
	global_load_b128 v[40:43], v[18:19], off offset:29568
	s_wait_loadcnt 0x0
	v_mul_f64_e32 v[18:19], v[242:243], v[42:43]
	v_mul_f64_e32 v[34:35], v[240:241], v[42:43]
	s_delay_alu instid0(VALU_DEP_2) | instskip(NEXT) | instid1(VALU_DEP_2)
	v_fma_f64 v[240:241], v[240:241], v[40:41], -v[18:19]
	v_fma_f64 v[242:243], v[242:243], v[40:41], v[34:35]
	ds_store_b128 v21, v[30:33] offset:1920
	ds_store_b128 v21, v[0:3] offset:4992
	;; [unrolled: 1-line block ×10, first 2 shown]
.LBB0_13:
	s_wait_alu 0xfffe
	s_or_b32 exec_lo, exec_lo, s1
	global_wb scope:SCOPE_SE
	s_wait_dscnt 0x0
	s_barrier_signal -1
	s_barrier_wait -1
	global_inv scope:SCOPE_SE
	scratch_load_b32 v0, off, off           ; 4-byte Folded Reload
	s_wait_loadcnt 0x0
	ds_load_b128 v[4:7], v0
	ds_load_b128 v[0:3], v21 offset:3072
	ds_load_b128 v[248:251], v21 offset:6144
	;; [unrolled: 1-line block ×9, first 2 shown]
	s_and_saveexec_b32 s1, vcc_lo
	s_cbranch_execz .LBB0_15
; %bb.14:
	scratch_load_b32 v16, off, off offset:12 ; 4-byte Folded Reload
	s_wait_loadcnt 0x0
	v_lshlrev_b32_e32 v16, 4, v16
	s_delay_alu instid0(VALU_DEP_1)
	v_lshl_add_u32 v16, v20, 4, v16
	ds_load_b128 v[208:211], v21 offset:1920
	ds_load_b128 v[212:215], v16 offset:4992
	;; [unrolled: 1-line block ×10, first 2 shown]
.LBB0_15:
	s_wait_alu 0xfffe
	s_or_b32 exec_lo, exec_lo, s1
	s_wait_dscnt 0x7
	v_add_f64_e32 v[18:19], v[4:5], v[248:249]
	v_add_f64_e32 v[26:27], v[6:7], v[250:251]
	s_wait_dscnt 0x5
	v_add_f64_e64 v[32:33], v[248:249], -v[252:253]
	v_add_f64_e64 v[34:35], v[252:253], -v[248:249]
	;; [unrolled: 1-line block ×4, first 2 shown]
	s_wait_dscnt 0x1
	v_add_f64_e64 v[44:45], v[250:251], -v[246:247]
	v_add_f64_e32 v[46:47], v[248:249], v[244:245]
	v_add_f64_e64 v[48:49], v[248:249], -v[244:245]
	v_add_f64_e32 v[50:51], v[250:251], v[246:247]
	v_add_f64_e64 v[248:249], v[244:245], -v[240:241]
	v_add_f64_e64 v[250:251], v[240:241], -v[244:245]
	v_add_f64_e32 v[28:29], v[252:253], v[240:241]
	v_add_f64_e64 v[30:31], v[254:255], -v[242:243]
	v_add_f64_e32 v[36:37], v[254:255], v[242:243]
	;; [unrolled: 2-line block ×3, first 2 shown]
	v_add_f64_e64 v[16:17], v[234:235], -v[238:239]
	v_add_f64_e64 v[60:61], v[238:239], -v[234:235]
	s_wait_dscnt 0x0
	v_add_f64_e64 v[62:63], v[234:235], -v[14:15]
	v_add_f64_e32 v[66:67], v[234:235], v[14:15]
	v_add_f64_e64 v[52:53], v[238:239], -v[10:11]
	v_add_f64_e64 v[54:55], v[232:233], -v[236:237]
	;; [unrolled: 1-line block ×4, first 2 shown]
	s_mov_b32 s12, 0x134454ff
	s_mov_b32 s13, 0xbfee6f0e
	;; [unrolled: 1-line block ×3, first 2 shown]
	s_wait_alu 0xfffe
	s_mov_b32 s14, s12
	s_mov_b32 s2, 0x4755a5e
	;; [unrolled: 1-line block ×4, first 2 shown]
	s_wait_alu 0xfffe
	s_mov_b32 s8, s2
	s_mov_b32 s18, 0x372fe950
	;; [unrolled: 1-line block ×6, first 2 shown]
	v_add_f64_e32 v[18:19], v[18:19], v[252:253]
	v_add_f64_e32 v[26:27], v[26:27], v[254:255]
	v_add_f64_e64 v[252:253], v[242:243], -v[246:247]
	v_add_f64_e64 v[254:255], v[236:237], -v[232:233]
	s_wait_alu 0xfffe
	s_mov_b32 s20, s18
	s_mov_b32 s23, 0xbfe9e377
	;; [unrolled: 1-line block ×3, first 2 shown]
	global_wb scope:SCOPE_SE
	s_barrier_signal -1
	s_barrier_wait -1
	global_inv scope:SCOPE_SE
	v_fma_f64 v[28:29], v[28:29], -0.5, v[4:5]
	v_fma_f64 v[4:5], v[46:47], -0.5, v[4:5]
	;; [unrolled: 1-line block ×5, first 2 shown]
	v_add_f64_e64 v[56:57], v[216:217], -v[228:229]
	v_add_f64_e32 v[18:19], v[18:19], v[240:241]
	v_add_f64_e32 v[26:27], v[26:27], v[242:243]
	v_add_f64_e64 v[240:241], v[246:247], -v[242:243]
	v_add_f64_e32 v[242:243], v[0:1], v[232:233]
	s_delay_alu instid0(VALU_DEP_4) | instskip(SKIP_2) | instid1(VALU_DEP_4)
	v_add_f64_e32 v[18:19], v[18:19], v[244:245]
	v_add_f64_e32 v[244:245], v[2:3], v[234:235]
	;; [unrolled: 1-line block ×6, first 2 shown]
	v_fma_f64 v[2:3], v[66:67], -0.5, v[2:3]
	v_add_f64_e64 v[66:67], v[230:231], -v[202:203]
	v_add_f64_e32 v[244:245], v[244:245], v[238:239]
	v_add_f64_e32 v[232:233], v[242:243], v[8:9]
	v_add_f64_e64 v[242:243], v[12:13], -v[8:9]
	v_add_f64_e64 v[8:9], v[8:9], -v[12:13]
	v_fma_f64 v[50:51], v[246:247], -0.5, v[0:1]
	v_fma_f64 v[0:1], v[236:237], -0.5, v[0:1]
	v_add_f64_e32 v[234:235], v[244:245], v[10:11]
	v_add_f64_e64 v[244:245], v[14:15], -v[10:11]
	v_add_f64_e64 v[10:11], v[10:11], -v[14:15]
	v_add_f64_e32 v[12:13], v[232:233], v[12:13]
	v_add_f64_e32 v[8:9], v[254:255], v[8:9]
	;; [unrolled: 1-line block ×6, first 2 shown]
	v_add_f64_e64 v[236:237], v[18:19], -v[12:13]
	v_add_f64_e32 v[12:13], v[32:33], v[248:249]
	v_fma_f64 v[32:33], v[62:63], s[12:13], v[50:51]
	v_add_f64_e32 v[18:19], v[54:55], v[242:243]
	v_fma_f64 v[54:55], v[48:49], s[14:15], v[36:37]
	v_add_f64_e64 v[60:61], v[216:217], -v[72:73]
	v_add_f64_e32 v[234:235], v[26:27], v[14:15]
	v_add_f64_e64 v[238:239], v[26:27], -v[14:15]
	v_fma_f64 v[26:27], v[64:65], s[14:15], v[46:47]
	v_add_f64_e32 v[14:15], v[40:41], v[240:241]
	v_fma_f64 v[32:33], v[52:53], s[2:3], v[32:33]
	v_fma_f64 v[54:55], v[38:39], s[8:9], v[54:55]
	s_delay_alu instid0(VALU_DEP_4) | instskip(NEXT) | instid1(VALU_DEP_3)
	v_fma_f64 v[26:27], v[58:59], s[8:9], v[26:27]
	v_fma_f64 v[32:33], v[18:19], s[18:19], v[32:33]
	s_delay_alu instid0(VALU_DEP_3) | instskip(NEXT) | instid1(VALU_DEP_3)
	v_fma_f64 v[54:55], v[14:15], s[18:19], v[54:55]
	v_fma_f64 v[26:27], v[16:17], s[18:19], v[26:27]
	s_delay_alu instid0(VALU_DEP_1) | instskip(NEXT) | instid1(VALU_DEP_1)
	v_mul_f64_e32 v[40:41], s[2:3], v[26:27]
	v_fma_f64 v[40:41], v[32:33], s[16:17], v[40:41]
	v_mul_f64_e32 v[32:33], s[8:9], v[32:33]
	s_delay_alu instid0(VALU_DEP_1) | instskip(SKIP_1) | instid1(VALU_DEP_2)
	v_fma_f64 v[26:27], v[26:27], s[16:17], v[32:33]
	v_fma_f64 v[32:33], v[44:45], s[12:13], v[28:29]
	v_add_f64_e32 v[246:247], v[54:55], v[26:27]
	s_delay_alu instid0(VALU_DEP_2)
	v_fma_f64 v[32:33], v[30:31], s[2:3], v[32:33]
	v_add_f64_e64 v[242:243], v[54:55], -v[26:27]
	v_add_f64_e32 v[26:27], v[34:35], v[250:251]
	v_fma_f64 v[34:35], v[58:59], s[12:13], v[2:3]
	v_fma_f64 v[2:3], v[58:59], s[14:15], v[2:3]
	;; [unrolled: 1-line block ×4, first 2 shown]
	s_delay_alu instid0(VALU_DEP_4) | instskip(NEXT) | instid1(VALU_DEP_4)
	v_fma_f64 v[34:35], v[64:65], s[8:9], v[34:35]
	v_fma_f64 v[2:3], v[64:65], s[2:3], v[2:3]
	s_delay_alu instid0(VALU_DEP_4) | instskip(NEXT) | instid1(VALU_DEP_4)
	v_fma_f64 v[54:55], v[48:49], s[8:9], v[54:55]
	v_add_f64_e32 v[244:245], v[32:33], v[40:41]
	v_add_f64_e64 v[240:241], v[32:33], -v[40:41]
	v_fma_f64 v[40:41], v[52:53], s[14:15], v[0:1]
	v_fma_f64 v[34:35], v[10:11], s[18:19], v[34:35]
	v_add_f64_e32 v[32:33], v[42:43], v[252:253]
	v_fma_f64 v[0:1], v[52:53], s[12:13], v[0:1]
	v_fma_f64 v[2:3], v[10:11], s[18:19], v[2:3]
	;; [unrolled: 1-line block ×5, first 2 shown]
	v_mul_f64_e32 v[42:43], s[12:13], v[34:35]
	v_mul_f64_e32 v[34:35], s[18:19], v[34:35]
	v_fma_f64 v[0:1], v[62:63], s[8:9], v[0:1]
	v_fma_f64 v[54:55], v[32:33], s[18:19], v[54:55]
	v_fma_f64 v[10:11], v[30:31], s[8:9], v[10:11]
	v_fma_f64 v[28:29], v[52:53], s[8:9], v[28:29]
	v_add_f64_e64 v[62:63], v[218:219], -v[230:231]
	v_fma_f64 v[40:41], v[8:9], s[18:19], v[40:41]
	v_fma_f64 v[0:1], v[8:9], s[18:19], v[0:1]
	v_fma_f64 v[10:11], v[12:13], s[18:19], v[10:11]
	v_fma_f64 v[12:13], v[18:19], s[18:19], v[28:29]
	v_add_f64_e64 v[28:29], v[220:221], -v[76:77]
	;; [unrolled: 5-line block ×3, first 2 shown]
	s_delay_alu instid0(VALU_DEP_4) | instskip(NEXT) | instid1(VALU_DEP_4)
	v_add_f64_e32 v[254:255], v[54:55], v[34:35]
	v_fma_f64 v[40:41], v[44:45], s[2:3], v[40:41]
	s_delay_alu instid0(VALU_DEP_4)
	v_fma_f64 v[4:5], v[44:45], s[8:9], v[4:5]
	v_add_f64_e64 v[250:251], v[54:55], -v[34:35]
	v_add_f64_e64 v[44:45], v[206:207], -v[78:79]
	;; [unrolled: 1-line block ×4, first 2 shown]
	v_fma_f64 v[40:41], v[26:27], s[18:19], v[40:41]
	v_fma_f64 v[26:27], v[26:27], s[18:19], v[4:5]
	;; [unrolled: 1-line block ×3, first 2 shown]
	s_delay_alu instid0(VALU_DEP_3) | instskip(SKIP_1) | instid1(VALU_DEP_3)
	v_add_f64_e32 v[252:253], v[40:41], v[42:43]
	v_add_f64_e64 v[248:249], v[40:41], -v[42:43]
	v_fma_f64 v[4:5], v[48:49], s[2:3], v[4:5]
	v_add_f64_e64 v[40:41], v[204:205], -v[76:77]
	v_add_f64_e64 v[42:43], v[78:79], -v[206:207]
	s_delay_alu instid0(VALU_DEP_3) | instskip(SKIP_3) | instid1(VALU_DEP_4)
	v_fma_f64 v[32:33], v[32:33], s[18:19], v[4:5]
	v_mul_f64_e32 v[4:5], s[12:13], v[2:3]
	s_wait_alu 0xfffe
	v_mul_f64_e32 v[2:3], s[20:21], v[2:3]
	v_add_f64_e32 v[30:31], v[42:43], v[30:31]
	s_delay_alu instid0(VALU_DEP_3) | instskip(NEXT) | instid1(VALU_DEP_3)
	v_fma_f64 v[8:9], v[0:1], s[20:21], v[4:5]
	v_fma_f64 v[2:3], v[0:1], s[14:15], v[2:3]
	s_delay_alu instid0(VALU_DEP_2)
	v_add_f64_e32 v[4:5], v[26:27], v[8:9]
	v_add_f64_e64 v[0:1], v[26:27], -v[8:9]
	v_fma_f64 v[8:9], v[64:65], s[12:13], v[46:47]
	v_fma_f64 v[26:27], v[48:49], s[12:13], v[36:37]
	v_add_f64_e32 v[6:7], v[32:33], v[2:3]
	v_add_f64_e64 v[2:3], v[32:33], -v[2:3]
	v_add_f64_e64 v[36:37], v[224:225], -v[204:205]
	;; [unrolled: 1-line block ×4, first 2 shown]
	v_fma_f64 v[8:9], v[58:59], s[2:3], v[8:9]
	v_fma_f64 v[26:27], v[38:39], s[2:3], v[26:27]
	v_add_f64_e64 v[38:39], v[76:77], -v[204:205]
	v_add_f64_e64 v[58:59], v[228:229], -v[216:217]
	v_add_f64_e32 v[32:33], v[44:45], v[32:33]
	v_fma_f64 v[8:9], v[16:17], s[18:19], v[8:9]
	v_fma_f64 v[16:17], v[14:15], s[18:19], v[26:27]
	s_delay_alu instid0(VALU_DEP_2) | instskip(SKIP_1) | instid1(VALU_DEP_2)
	v_mul_f64_e32 v[14:15], s[2:3], v[8:9]
	v_mul_f64_e32 v[8:9], s[22:23], v[8:9]
	v_fma_f64 v[18:19], v[12:13], s[22:23], v[14:15]
	s_delay_alu instid0(VALU_DEP_2) | instskip(NEXT) | instid1(VALU_DEP_2)
	v_fma_f64 v[26:27], v[12:13], s[8:9], v[8:9]
	v_add_f64_e32 v[12:13], v[10:11], v[18:19]
	s_delay_alu instid0(VALU_DEP_2)
	v_add_f64_e32 v[14:15], v[16:17], v[26:27]
	v_add_f64_e64 v[8:9], v[10:11], -v[18:19]
	v_add_f64_e64 v[10:11], v[16:17], -v[26:27]
	;; [unrolled: 1-line block ×5, first 2 shown]
	ds_store_b128 v23, v[232:235]
	ds_store_b128 v23, v[236:239] offset:80
	ds_store_b128 v23, v[244:247] offset:16
	;; [unrolled: 1-line block ×9, first 2 shown]
	v_add_f64_e32 v[0:1], v[204:205], v[224:225]
	v_add_f64_e32 v[4:5], v[228:229], v[200:201]
	;; [unrolled: 1-line block ×6, first 2 shown]
	v_fma_f64 v[8:9], v[0:1], -0.5, v[208:209]
	v_add_f64_e32 v[0:1], v[76:77], v[220:221]
	v_fma_f64 v[46:47], v[4:5], -0.5, v[212:213]
	v_add_f64_e32 v[4:5], v[72:73], v[216:217]
	v_add_f64_e32 v[2:3], v[226:227], v[2:3]
	;; [unrolled: 1-line block ×3, first 2 shown]
	v_fma_f64 v[10:11], v[0:1], -0.5, v[208:209]
	v_add_f64_e32 v[0:1], v[206:207], v[226:227]
	v_fma_f64 v[48:49], v[4:5], -0.5, v[212:213]
	v_add_f64_e32 v[4:5], v[230:231], v[202:203]
	v_add_f64_e32 v[2:3], v[206:207], v[2:3]
	;; [unrolled: 1-line block ×3, first 2 shown]
	v_fma_f64 v[12:13], v[0:1], -0.5, v[210:211]
	v_add_f64_e32 v[0:1], v[78:79], v[222:223]
	v_fma_f64 v[50:51], v[4:5], -0.5, v[214:215]
	v_add_f64_e32 v[4:5], v[74:75], v[218:219]
	v_add_f64_e32 v[2:3], v[78:79], v[2:3]
	v_add_f64_e64 v[78:79], v[202:203], -v[74:75]
	v_add_f64_e64 v[202:203], v[74:75], -v[202:203]
	v_add_f64_e32 v[6:7], v[74:75], v[6:7]
	v_fma_f64 v[14:15], v[0:1], -0.5, v[210:211]
	v_add_f64_e32 v[0:1], v[220:221], v[208:209]
	v_fma_f64 v[52:53], v[4:5], -0.5, v[214:215]
	v_add_f64_e32 v[4:5], v[216:217], v[212:213]
	v_add_f64_e32 v[44:45], v[78:79], v[64:65]
	v_fma_f64 v[64:65], v[66:67], s[14:15], v[48:49]
	v_fma_f64 v[48:49], v[66:67], s[12:13], v[48:49]
	v_add_f64_e32 v[42:43], v[202:203], v[62:63]
	v_add_f64_e64 v[210:211], v[2:3], -v[6:7]
	v_add_f64_e32 v[0:1], v[224:225], v[0:1]
	v_add_f64_e32 v[4:5], v[228:229], v[4:5]
	v_fma_f64 v[64:65], v[54:55], s[2:3], v[64:65]
	v_fma_f64 v[48:49], v[54:55], s[8:9], v[48:49]
	s_delay_alu instid0(VALU_DEP_4) | instskip(SKIP_2) | instid1(VALU_DEP_3)
	v_add_f64_e32 v[0:1], v[204:205], v[0:1]
	v_add_f64_e64 v[204:205], v[228:229], -v[200:201]
	v_add_f64_e32 v[4:5], v[200:201], v[4:5]
	v_add_f64_e32 v[0:1], v[76:77], v[0:1]
	v_add_f64_e64 v[76:77], v[200:201], -v[72:73]
	v_add_f64_e64 v[200:201], v[72:73], -v[200:201]
	s_delay_alu instid0(VALU_DEP_4) | instskip(NEXT) | instid1(VALU_DEP_3)
	v_add_f64_e32 v[4:5], v[72:73], v[4:5]
	v_add_f64_e32 v[40:41], v[76:77], v[58:59]
	v_fma_f64 v[58:59], v[204:205], s[12:13], v[52:53]
	s_delay_alu instid0(VALU_DEP_4)
	v_add_f64_e32 v[38:39], v[200:201], v[56:57]
	v_fma_f64 v[56:57], v[16:17], s[12:13], v[8:9]
	v_fma_f64 v[8:9], v[16:17], s[14:15], v[8:9]
	v_add_f64_e64 v[208:209], v[0:1], -v[4:5]
	v_fma_f64 v[64:65], v[40:41], s[18:19], v[64:65]
	v_fma_f64 v[58:59], v[60:61], s[8:9], v[58:59]
	;; [unrolled: 1-line block ×4, first 2 shown]
	s_delay_alu instid0(VALU_DEP_3) | instskip(NEXT) | instid1(VALU_DEP_2)
	v_fma_f64 v[58:59], v[44:45], s[18:19], v[58:59]
	v_fma_f64 v[8:9], v[18:19], s[18:19], v[8:9]
	s_delay_alu instid0(VALU_DEP_2) | instskip(SKIP_1) | instid1(VALU_DEP_2)
	v_mul_f64_e32 v[72:73], s[12:13], v[58:59]
	v_mul_f64_e32 v[58:59], s[18:19], v[58:59]
	v_fma_f64 v[76:77], v[64:65], s[18:19], v[72:73]
	s_delay_alu instid0(VALU_DEP_2) | instskip(SKIP_4) | instid1(VALU_DEP_4)
	v_fma_f64 v[58:59], v[64:65], s[14:15], v[58:59]
	v_fma_f64 v[64:65], v[34:35], s[14:15], v[10:11]
	;; [unrolled: 1-line block ×6, first 2 shown]
	s_delay_alu instid0(VALU_DEP_4)
	v_fma_f64 v[16:17], v[16:17], s[8:9], v[10:11]
	v_fma_f64 v[10:11], v[28:29], s[14:15], v[12:13]
	;; [unrolled: 1-line block ×17, first 2 shown]
	v_add_f64_e32 v[72:73], v[64:65], v[76:77]
	v_add_f64_e64 v[76:77], v[64:65], -v[76:77]
	v_fma_f64 v[10:11], v[60:61], s[2:3], v[10:11]
	v_fma_f64 v[14:15], v[30:31], s[18:19], v[36:37]
	;; [unrolled: 1-line block ×7, first 2 shown]
	v_add_f64_e32 v[74:75], v[78:79], v[58:59]
	v_add_f64_e64 v[78:79], v[78:79], -v[58:59]
	v_fma_f64 v[44:45], v[44:45], s[18:19], v[10:11]
	v_fma_f64 v[10:11], v[18:19], s[18:19], v[56:57]
	;; [unrolled: 1-line block ×6, first 2 shown]
	v_mul_f64_e32 v[34:35], s[12:13], v[44:45]
	v_mul_f64_e32 v[36:37], s[20:21], v[44:45]
	s_delay_alu instid0(VALU_DEP_2) | instskip(NEXT) | instid1(VALU_DEP_2)
	v_fma_f64 v[218:219], v[28:29], s[20:21], v[34:35]
	v_fma_f64 v[222:223], v[28:29], s[14:15], v[36:37]
	v_mul_f64_e32 v[28:29], s[2:3], v[32:33]
	v_mul_f64_e32 v[32:33], s[22:23], v[32:33]
	s_delay_alu instid0(VALU_DEP_4) | instskip(NEXT) | instid1(VALU_DEP_4)
	v_add_f64_e32 v[200:201], v[12:13], v[218:219]
	v_add_f64_e32 v[202:203], v[216:217], v[222:223]
	s_delay_alu instid0(VALU_DEP_4) | instskip(NEXT) | instid1(VALU_DEP_4)
	v_fma_f64 v[220:221], v[26:27], s[22:23], v[28:29]
	v_fma_f64 v[224:225], v[26:27], s[8:9], v[32:33]
	v_mul_f64_e32 v[26:27], s[2:3], v[30:31]
	v_mul_f64_e32 v[28:29], s[16:17], v[30:31]
	s_delay_alu instid0(VALU_DEP_4) | instskip(NEXT) | instid1(VALU_DEP_4)
	v_add_f64_e32 v[204:205], v[8:9], v[220:221]
	v_add_f64_e32 v[206:207], v[14:15], v[224:225]
	s_delay_alu instid0(VALU_DEP_4) | instskip(NEXT) | instid1(VALU_DEP_4)
	v_fma_f64 v[226:227], v[16:17], s[16:17], v[26:27]
	v_fma_f64 v[228:229], v[16:17], s[8:9], v[28:29]
	s_delay_alu instid0(VALU_DEP_2) | instskip(NEXT) | instid1(VALU_DEP_2)
	v_add_f64_e64 v[212:213], v[10:11], -v[226:227]
	v_add_f64_e64 v[214:215], v[18:19], -v[228:229]
	s_and_saveexec_b32 s1, vcc_lo
	s_cbranch_execz .LBB0_17
; %bb.16:
	v_add_f64_e64 v[26:27], v[12:13], -v[218:219]
	s_clause 0x1
	scratch_load_b32 v12, off, off offset:12
	scratch_load_b32 v13, off, off offset:220 th:TH_LOAD_LU
	v_add_f64_e32 v[2:3], v[6:7], v[2:3]
	v_add_f64_e32 v[0:1], v[4:5], v[0:1]
	;; [unrolled: 1-line block ×4, first 2 shown]
	v_add_f64_e64 v[28:29], v[216:217], -v[222:223]
	v_add_f64_e64 v[10:11], v[14:15], -v[224:225]
	;; [unrolled: 1-line block ×3, first 2 shown]
	s_wait_loadcnt 0x0
	v_add_lshl_u32 v12, v12, v13, 4
	ds_store_b128 v12, v[0:3]
	ds_store_b128 v12, v[4:7] offset:16
	ds_store_b128 v12, v[72:75] offset:32
	;; [unrolled: 1-line block ×9, first 2 shown]
.LBB0_17:
	s_wait_alu 0xfffe
	s_or_b32 exec_lo, exec_lo, s1
	global_wb scope:SCOPE_SE
	s_wait_dscnt 0x0
	s_barrier_signal -1
	s_barrier_wait -1
	global_inv scope:SCOPE_SE
	scratch_load_b32 v0, off, off           ; 4-byte Folded Reload
	s_wait_loadcnt 0x0
	ds_load_b128 v[4:7], v0
	ds_load_b128 v[0:3], v21 offset:1920
	ds_load_b128 v[220:223], v21 offset:5120
	;; [unrolled: 1-line block ×11, first 2 shown]
	s_and_saveexec_b32 s1, s0
	s_cbranch_execz .LBB0_19
; %bb.18:
	ds_load_b128 v[72:75], v21 offset:3840
	ds_load_b128 v[200:203], v21 offset:8960
	;; [unrolled: 1-line block ×6, first 2 shown]
.LBB0_19:
	s_wait_alu 0xfffe
	s_or_b32 exec_lo, exec_lo, s1
	s_wait_dscnt 0x1
	v_mul_f64_e32 v[26:27], v[94:95], v[244:245]
	scratch_load_b128 v[52:55], off, off offset:184 th:TH_LOAD_LU ; 16-byte Folded Reload
	v_mul_f64_e32 v[18:19], v[70:71], v[242:243]
	v_mul_f64_e32 v[16:17], v[70:71], v[240:241]
	s_mov_b32 s2, 0xe8584caa
	s_mov_b32 s3, 0xbfebb67a
	;; [unrolled: 1-line block ×3, first 2 shown]
	s_wait_alu 0xfffe
	s_mov_b32 s8, s2
	v_fma_f64 v[30:31], v[92:93], v[246:247], -v[26:27]
	v_mul_f64_e32 v[26:27], v[94:95], v[246:247]
	s_delay_alu instid0(VALU_DEP_4) | instskip(NEXT) | instid1(VALU_DEP_4)
	v_fma_f64 v[18:19], v[68:69], v[240:241], v[18:19]
	v_fma_f64 v[16:17], v[68:69], v[242:243], -v[16:17]
	s_delay_alu instid0(VALU_DEP_3) | instskip(SKIP_1) | instid1(VALU_DEP_1)
	v_fma_f64 v[32:33], v[92:93], v[244:245], v[26:27]
	v_mul_f64_e32 v[26:27], v[86:87], v[232:233]
	v_fma_f64 v[42:43], v[84:85], v[234:235], -v[26:27]
	v_mul_f64_e32 v[26:27], v[86:87], v[234:235]
	s_delay_alu instid0(VALU_DEP_1) | instskip(SKIP_2) | instid1(VALU_DEP_1)
	v_fma_f64 v[44:45], v[84:85], v[232:233], v[26:27]
	s_wait_dscnt 0x0
	v_mul_f64_e32 v[26:27], v[90:91], v[236:237]
	v_fma_f64 v[46:47], v[88:89], v[238:239], -v[26:27]
	v_mul_f64_e32 v[26:27], v[90:91], v[238:239]
	s_delay_alu instid0(VALU_DEP_1) | instskip(SKIP_1) | instid1(VALU_DEP_1)
	v_fma_f64 v[48:49], v[88:89], v[236:237], v[26:27]
	v_mul_f64_e32 v[26:27], v[82:83], v[226:227]
	v_fma_f64 v[34:35], v[80:81], v[224:225], v[26:27]
	v_mul_f64_e32 v[26:27], v[82:83], v[224:225]
	s_delay_alu instid0(VALU_DEP_1) | instskip(SKIP_1) | instid1(VALU_DEP_1)
	v_fma_f64 v[36:37], v[80:81], v[226:227], -v[26:27]
	v_mul_f64_e32 v[26:27], v[118:119], v[230:231]
	v_fma_f64 v[38:39], v[116:117], v[228:229], v[26:27]
	v_mul_f64_e32 v[26:27], v[118:119], v[228:229]
	s_delay_alu instid0(VALU_DEP_1) | instskip(SKIP_2) | instid1(VALU_DEP_1)
	v_fma_f64 v[40:41], v[116:117], v[230:231], -v[26:27]
	s_wait_loadcnt 0x0
	v_mul_f64_e32 v[26:27], v[54:55], v[220:221]
	v_fma_f64 v[50:51], v[52:53], v[222:223], -v[26:27]
	v_mul_f64_e32 v[26:27], v[54:55], v[222:223]
	s_delay_alu instid0(VALU_DEP_1) | instskip(SKIP_1) | instid1(VALU_DEP_1)
	v_fma_f64 v[52:53], v[52:53], v[220:221], v[26:27]
	v_mul_f64_e32 v[26:27], v[110:111], v[14:15]
	v_fma_f64 v[54:55], v[108:109], v[12:13], v[26:27]
	scratch_load_b128 v[26:29], off, off offset:200 th:TH_LOAD_LU ; 16-byte Folded Reload
	v_mul_f64_e32 v[12:13], v[110:111], v[12:13]
	global_wb scope:SCOPE_SE
	s_wait_loadcnt 0x0
	s_barrier_signal -1
	s_barrier_wait -1
	global_inv scope:SCOPE_SE
	v_fma_f64 v[56:57], v[108:109], v[14:15], -v[12:13]
	v_mul_f64_e32 v[12:13], v[114:115], v[218:219]
	s_delay_alu instid0(VALU_DEP_1) | instskip(SKIP_1) | instid1(VALU_DEP_1)
	v_fma_f64 v[58:59], v[112:113], v[216:217], v[12:13]
	v_mul_f64_e32 v[12:13], v[114:115], v[216:217]
	v_fma_f64 v[60:61], v[112:113], v[218:219], -v[12:13]
	v_mul_f64_e32 v[12:13], v[28:29], v[8:9]
	s_delay_alu instid0(VALU_DEP_1) | instskip(SKIP_1) | instid1(VALU_DEP_1)
	v_fma_f64 v[62:63], v[26:27], v[10:11], -v[12:13]
	v_mul_f64_e32 v[10:11], v[28:29], v[10:11]
	v_fma_f64 v[64:65], v[26:27], v[8:9], v[10:11]
	v_add_f64_e32 v[8:9], v[34:35], v[38:39]
	s_delay_alu instid0(VALU_DEP_1) | instskip(SKIP_3) | instid1(VALU_DEP_3)
	v_fma_f64 v[66:67], v[8:9], -0.5, v[4:5]
	v_add_f64_e32 v[8:9], v[36:37], v[40:41]
	v_add_f64_e32 v[4:5], v[4:5], v[34:35]
	v_add_f64_e64 v[34:35], v[34:35], -v[38:39]
	v_fma_f64 v[68:69], v[8:9], -0.5, v[6:7]
	s_delay_alu instid0(VALU_DEP_3) | instskip(SKIP_3) | instid1(VALU_DEP_3)
	v_add_f64_e32 v[8:9], v[4:5], v[38:39]
	v_add_f64_e32 v[4:5], v[52:53], v[18:19]
	v_add_f64_e32 v[6:7], v[6:7], v[36:37]
	v_add_f64_e64 v[36:37], v[36:37], -v[40:41]
	v_add_f64_e32 v[12:13], v[4:5], v[32:33]
	v_add_f64_e32 v[4:5], v[50:51], v[16:17]
	s_delay_alu instid0(VALU_DEP_4) | instskip(NEXT) | instid1(VALU_DEP_2)
	v_add_f64_e32 v[10:11], v[6:7], v[40:41]
	v_add_f64_e32 v[14:15], v[4:5], v[30:31]
	s_delay_alu instid0(VALU_DEP_4) | instskip(SKIP_2) | instid1(VALU_DEP_4)
	v_add_f64_e32 v[4:5], v[8:9], v[12:13]
	v_add_f64_e64 v[8:9], v[8:9], -v[12:13]
	v_add_f64_e32 v[12:13], v[54:55], v[58:59]
	v_add_f64_e32 v[6:7], v[10:11], v[14:15]
	v_add_f64_e64 v[10:11], v[10:11], -v[14:15]
	s_delay_alu instid0(VALU_DEP_3) | instskip(SKIP_2) | instid1(VALU_DEP_2)
	v_fma_f64 v[70:71], v[12:13], -0.5, v[0:1]
	v_add_f64_e32 v[12:13], v[56:57], v[60:61]
	v_add_f64_e32 v[0:1], v[0:1], v[54:55]
	v_fma_f64 v[80:81], v[12:13], -0.5, v[2:3]
	v_add_f64_e32 v[12:13], v[64:65], v[44:45]
	v_add_f64_e32 v[2:3], v[2:3], v[56:57]
	s_delay_alu instid0(VALU_DEP_4) | instskip(NEXT) | instid1(VALU_DEP_3)
	v_add_f64_e32 v[0:1], v[0:1], v[58:59]
	v_add_f64_e32 v[26:27], v[12:13], v[48:49]
	;; [unrolled: 1-line block ×3, first 2 shown]
	s_delay_alu instid0(VALU_DEP_4) | instskip(NEXT) | instid1(VALU_DEP_2)
	v_add_f64_e32 v[2:3], v[2:3], v[60:61]
	v_add_f64_e32 v[28:29], v[12:13], v[46:47]
	s_delay_alu instid0(VALU_DEP_4)
	v_add_f64_e32 v[12:13], v[0:1], v[26:27]
	v_add_f64_e64 v[26:27], v[0:1], -v[26:27]
	v_add_f64_e32 v[0:1], v[18:19], v[32:33]
	v_add_f64_e64 v[18:19], v[18:19], -v[32:33]
	;; [unrolled: 2-line block ×4, first 2 shown]
	v_fma_f64 v[38:39], v[0:1], -0.5, v[52:53]
	s_wait_alu 0xfffe
	v_fma_f64 v[52:53], v[34:35], s[8:9], v[68:69]
	s_delay_alu instid0(VALU_DEP_4) | instskip(NEXT) | instid1(VALU_DEP_3)
	v_fma_f64 v[50:51], v[2:3], -0.5, v[50:51]
	v_fma_f64 v[30:31], v[16:17], s[2:3], v[38:39]
	v_fma_f64 v[16:17], v[16:17], s[8:9], v[38:39]
	v_fma_f64 v[38:39], v[36:37], s[8:9], v[66:67]
	s_delay_alu instid0(VALU_DEP_4) | instskip(SKIP_1) | instid1(VALU_DEP_2)
	v_fma_f64 v[0:1], v[18:19], s[8:9], v[50:51]
	v_fma_f64 v[18:19], v[18:19], s[2:3], v[50:51]
	v_mul_f64_e32 v[2:3], s[2:3], v[0:1]
	v_mul_f64_e32 v[0:1], 0.5, v[0:1]
	s_delay_alu instid0(VALU_DEP_2) | instskip(NEXT) | instid1(VALU_DEP_2)
	v_fma_f64 v[32:33], v[30:31], 0.5, v[2:3]
	v_fma_f64 v[40:41], v[30:31], s[8:9], v[0:1]
	v_fma_f64 v[30:31], v[36:37], s[2:3], v[66:67]
	s_delay_alu instid0(VALU_DEP_2) | instskip(NEXT) | instid1(VALU_DEP_2)
	v_add_f64_e32 v[2:3], v[52:53], v[40:41]
	v_add_f64_e32 v[0:1], v[30:31], v[32:33]
	v_add_f64_e64 v[30:31], v[30:31], -v[32:33]
	v_add_f64_e64 v[32:33], v[52:53], -v[40:41]
	v_fma_f64 v[40:41], v[34:35], s[2:3], v[68:69]
	v_mul_f64_e32 v[34:35], s[2:3], v[18:19]
	v_mul_f64_e32 v[18:19], -0.5, v[18:19]
	s_delay_alu instid0(VALU_DEP_2) | instskip(NEXT) | instid1(VALU_DEP_2)
	v_fma_f64 v[50:51], v[16:17], -0.5, v[34:35]
	v_fma_f64 v[16:17], v[16:17], s[8:9], v[18:19]
	v_add_f64_e64 v[18:19], v[44:45], -v[48:49]
	s_delay_alu instid0(VALU_DEP_3) | instskip(NEXT) | instid1(VALU_DEP_3)
	v_add_f64_e32 v[34:35], v[38:39], v[50:51]
	v_add_f64_e32 v[36:37], v[40:41], v[16:17]
	v_add_f64_e64 v[40:41], v[40:41], -v[16:17]
	v_add_f64_e32 v[16:17], v[44:45], v[48:49]
	v_add_f64_e32 v[44:45], v[42:43], v[46:47]
	v_add_f64_e64 v[38:39], v[38:39], -v[50:51]
	v_add_f64_e64 v[42:43], v[42:43], -v[46:47]
	;; [unrolled: 1-line block ×4, first 2 shown]
	ds_store_b128 v24, v[4:7]
	ds_store_b128 v24, v[8:11] offset:480
	ds_store_b128 v24, v[0:3] offset:160
	;; [unrolled: 1-line block ×3, first 2 shown]
	v_add_nc_u32_e32 v0, 0x1e00, v21
	v_add_nc_u32_e32 v1, 0x2d00, v21
	;; [unrolled: 1-line block ×3, first 2 shown]
	ds_store_b128 v24, v[30:33] offset:640
	v_fma_f64 v[16:17], v[16:17], -0.5, v[64:65]
	v_fma_f64 v[44:45], v[44:45], -0.5, v[62:63]
	v_fma_f64 v[56:57], v[48:49], s[8:9], v[80:81]
	s_delay_alu instid0(VALU_DEP_3) | instskip(NEXT) | instid1(VALU_DEP_3)
	v_fma_f64 v[54:55], v[42:43], s[2:3], v[16:17]
	v_fma_f64 v[50:51], v[18:19], s[8:9], v[44:45]
	;; [unrolled: 1-line block ×6, first 2 shown]
	v_mul_f64_e32 v[52:53], s[2:3], v[50:51]
	v_mul_f64_e32 v[50:51], 0.5, v[50:51]
	s_delay_alu instid0(VALU_DEP_2) | instskip(NEXT) | instid1(VALU_DEP_2)
	v_fma_f64 v[52:53], v[54:55], 0.5, v[52:53]
	v_fma_f64 v[50:51], v[54:55], s[8:9], v[50:51]
	v_fma_f64 v[54:55], v[46:47], s[2:3], v[70:71]
	v_mul_f64_e32 v[46:47], s[2:3], v[18:19]
	v_mul_f64_e32 v[18:19], -0.5, v[18:19]
	s_delay_alu instid0(VALU_DEP_4) | instskip(NEXT) | instid1(VALU_DEP_4)
	v_add_f64_e32 v[62:63], v[56:57], v[50:51]
	v_add_f64_e32 v[60:61], v[54:55], v[52:53]
	s_delay_alu instid0(VALU_DEP_4) | instskip(NEXT) | instid1(VALU_DEP_4)
	v_fma_f64 v[46:47], v[16:17], -0.5, v[46:47]
	v_fma_f64 v[16:17], v[16:17], s[8:9], v[18:19]
	v_add_f64_e64 v[64:65], v[54:55], -v[52:53]
	v_add_f64_e64 v[66:67], v[56:57], -v[50:51]
	s_delay_alu instid0(VALU_DEP_4) | instskip(NEXT) | instid1(VALU_DEP_4)
	v_add_f64_e32 v[68:69], v[42:43], v[46:47]
	v_add_f64_e32 v[70:71], v[44:45], v[16:17]
	v_add_f64_e64 v[80:81], v[42:43], -v[46:47]
	v_add_f64_e64 v[82:83], v[44:45], -v[16:17]
	ds_store_b128 v24, v[38:41] offset:800
	ds_store_b128 v22, v[12:15]
	ds_store_b128 v22, v[60:63] offset:160
	ds_store_b128 v22, v[68:71] offset:320
	;; [unrolled: 1-line block ×5, first 2 shown]
	s_and_saveexec_b32 s1, s0
	s_cbranch_execz .LBB0_21
; %bb.20:
	s_clause 0x2
	scratch_load_b128 v[28:31], off, off offset:224 th:TH_LOAD_LU
	scratch_load_b128 v[34:37], off, off offset:256 th:TH_LOAD_LU
	;; [unrolled: 1-line block ×3, first 2 shown]
	s_wait_loadcnt 0x2
	v_mul_f64_e32 v[3:4], v[30:31], v[208:209]
	s_wait_loadcnt 0x1
	v_mul_f64_e32 v[5:6], v[36:37], v[76:77]
	v_mul_f64_e32 v[7:8], v[30:31], v[210:211]
	;; [unrolled: 1-line block ×3, first 2 shown]
	s_clause 0x1
	scratch_load_b128 v[30:33], off, off offset:240 th:TH_LOAD_LU
	scratch_load_b128 v[36:39], off, off offset:272 th:TH_LOAD_LU
	s_wait_loadcnt 0x2
	v_mul_f64_e32 v[15:16], v[42:43], v[212:213]
	v_mul_f64_e32 v[22:23], v[42:43], v[214:215]
	v_fma_f64 v[3:4], v[28:29], v[210:211], -v[3:4]
	v_fma_f64 v[5:6], v[34:35], v[78:79], -v[5:6]
	v_fma_f64 v[7:8], v[28:29], v[208:209], v[7:8]
	v_fma_f64 v[9:10], v[34:35], v[76:77], v[9:10]
	v_fma_f64 v[15:16], v[40:41], v[214:215], -v[15:16]
	v_fma_f64 v[22:23], v[40:41], v[212:213], v[22:23]
	v_add_f64_e32 v[28:29], v[3:4], v[5:6]
	s_wait_loadcnt 0x1
	v_mul_f64_e32 v[11:12], v[32:33], v[200:201]
	s_wait_loadcnt 0x0
	v_mul_f64_e32 v[13:14], v[38:39], v[204:205]
	v_mul_f64_e32 v[17:18], v[38:39], v[206:207]
	v_mul_f64_e32 v[26:27], v[32:33], v[202:203]
	v_add_f64_e64 v[32:33], v[7:8], -v[9:10]
	v_fma_f64 v[11:12], v[30:31], v[202:203], -v[11:12]
	v_fma_f64 v[13:14], v[36:37], v[206:207], -v[13:14]
	v_fma_f64 v[17:18], v[36:37], v[204:205], v[17:18]
	v_fma_f64 v[26:27], v[30:31], v[200:201], v[26:27]
	v_add_f64_e64 v[36:37], v[3:4], -v[5:6]
	v_add_f64_e32 v[30:31], v[7:8], v[9:10]
	v_add_f64_e32 v[3:4], v[3:4], v[11:12]
	;; [unrolled: 1-line block ×3, first 2 shown]
	v_fma_f64 v[28:29], v[28:29], -0.5, v[11:12]
	v_add_f64_e32 v[34:35], v[15:16], v[13:14]
	v_add_f64_e64 v[11:12], v[13:14], -v[15:16]
	v_add_f64_e32 v[7:8], v[7:8], v[26:27]
	v_add_f64_e32 v[38:39], v[22:23], v[17:18]
	v_fma_f64 v[30:31], v[30:31], -0.5, v[26:27]
	v_add_f64_e32 v[13:14], v[17:18], v[72:73]
	v_add_f64_e32 v[15:16], v[15:16], v[42:43]
	;; [unrolled: 1-line block ×3, first 2 shown]
	v_fma_f64 v[40:41], v[32:33], s[2:3], v[28:29]
	v_fma_f64 v[28:29], v[32:33], s[8:9], v[28:29]
	v_add_f64_e32 v[7:8], v[9:10], v[7:8]
	v_add_f64_e64 v[32:33], v[17:18], -v[22:23]
	v_fma_f64 v[17:18], v[34:35], -0.5, v[74:75]
	v_fma_f64 v[26:27], v[38:39], -0.5, v[72:73]
	v_fma_f64 v[34:35], v[36:37], s[8:9], v[30:31]
	v_fma_f64 v[30:31], v[36:37], s[2:3], v[30:31]
	v_add_f64_e32 v[13:14], v[22:23], v[13:14]
	v_add_f64_e64 v[5:6], v[15:16], -v[42:43]
	v_add_f64_e32 v[9:10], v[15:16], v[42:43]
	s_clause 0x1
	scratch_load_b32 v15, off, off offset:216 th:TH_LOAD_LU
	scratch_load_b32 v16, off, off offset:12 th:TH_LOAD_LU
	v_mul_f64_e32 v[38:39], -0.5, v[40:41]
	v_mul_f64_e32 v[36:37], 0.5, v[28:29]
	v_mul_f64_e32 v[28:29], s[2:3], v[28:29]
	v_mul_f64_e32 v[40:41], s[2:3], v[40:41]
	v_fma_f64 v[22:23], v[32:33], s[2:3], v[17:18]
	v_fma_f64 v[17:18], v[32:33], s[8:9], v[17:18]
	;; [unrolled: 1-line block ×4, first 2 shown]
	v_add_f64_e64 v[3:4], v[13:14], -v[7:8]
	v_add_f64_e32 v[7:8], v[13:14], v[7:8]
	v_fma_f64 v[32:33], v[34:35], s[8:9], v[38:39]
	v_fma_f64 v[36:37], v[30:31], s[8:9], v[36:37]
	v_fma_f64 v[38:39], v[30:31], 0.5, v[28:29]
	v_fma_f64 v[40:41], v[34:35], -0.5, v[40:41]
	s_delay_alu instid0(VALU_DEP_4)
	v_add_f64_e64 v[13:14], v[22:23], -v[32:33]
	v_add_f64_e32 v[28:29], v[22:23], v[32:33]
	v_add_f64_e32 v[32:33], v[17:18], v[36:37]
	;; [unrolled: 1-line block ×4, first 2 shown]
	v_add_f64_e64 v[36:37], v[17:18], -v[36:37]
	v_add_f64_e64 v[34:35], v[11:12], -v[38:39]
	;; [unrolled: 1-line block ×3, first 2 shown]
	s_wait_loadcnt 0x1
	v_and_b32_e32 v15, 0xffff, v15
	s_wait_loadcnt 0x0
	s_delay_alu instid0(VALU_DEP_1)
	v_add_lshl_u32 v15, v16, v15, 4
	ds_store_b128 v15, v[7:10]
	ds_store_b128 v15, v[30:33] offset:160
	ds_store_b128 v15, v[26:29] offset:320
	;; [unrolled: 1-line block ×5, first 2 shown]
.LBB0_21:
	s_wait_alu 0xfffe
	s_or_b32 exec_lo, exec_lo, s1
	global_wb scope:SCOPE_SE
	s_wait_dscnt 0x0
	s_barrier_signal -1
	s_barrier_wait -1
	global_inv scope:SCOPE_SE
	ds_load_b128 v[3:6], v21 offset:1920
	ds_load_b128 v[7:10], v21 offset:3840
	;; [unrolled: 1-line block ×15, first 2 shown]
	s_mov_b32 s0, 0x667f3bcd
	s_mov_b32 s1, 0xbfe6a09e
	s_mov_b32 s3, 0x3fe6a09e
	s_wait_alu 0xfffe
	s_mov_b32 s2, s0
	s_mov_b32 s8, 0xcf328d46
	s_mov_b32 s9, 0xbfed906b
	s_mov_b32 s17, 0x3fed906b
	s_wait_alu 0xfffe
	s_mov_b32 s16, s8
	;; [unrolled: 5-line block ×3, first 2 shown]
	s_wait_dscnt 0x6
	v_mul_f64_e32 v[108:109], v[154:155], v[46:47]
	s_wait_dscnt 0x5
	v_mul_f64_e32 v[110:111], v[146:147], v[52:53]
	v_mul_f64_e32 v[15:16], v[106:107], v[5:6]
	;; [unrolled: 1-line block ×19, first 2 shown]
	s_wait_dscnt 0x3
	v_mul_f64_e32 v[114:115], v[142:143], v[60:61]
	v_mul_f64_e32 v[116:117], v[142:143], v[58:59]
	s_wait_dscnt 0x1
	v_mul_f64_e32 v[118:119], v[150:151], v[68:69]
	v_mul_f64_e32 v[122:123], v[158:159], v[62:63]
	v_fma_f64 v[48:49], v[152:153], v[48:49], -v[108:109]
	v_fma_f64 v[50:51], v[144:145], v[50:51], v[110:111]
	v_fma_f64 v[15:16], v[104:105], v[3:4], v[15:16]
	v_mul_f64_e32 v[3:4], v[150:151], v[66:67]
	v_fma_f64 v[7:8], v[100:101], v[7:8], v[22:23]
	v_fma_f64 v[44:45], v[136:137], v[44:45], -v[102:103]
	scratch_load_b32 v102, off, off th:TH_LOAD_LU ; 4-byte Folded Reload
	v_fma_f64 v[9:10], v[100:101], v[9:10], -v[74:75]
	v_mul_f64_e32 v[22:23], v[162:163], v[54:55]
	v_fma_f64 v[17:18], v[104:105], v[5:6], -v[17:18]
	v_mul_f64_e32 v[5:6], v[162:163], v[56:57]
	v_mul_f64_e32 v[104:105], v[158:159], v[64:65]
	s_wait_dscnt 0x0
	v_mul_f64_e32 v[74:75], v[166:167], v[70:71]
	v_mul_f64_e32 v[100:101], v[166:167], v[72:73]
	v_fma_f64 v[11:12], v[96:97], v[11:12], v[76:77]
	v_fma_f64 v[13:14], v[96:97], v[13:14], -v[78:79]
	v_fma_f64 v[26:27], v[120:121], v[26:27], v[80:81]
	v_fma_f64 v[28:29], v[120:121], v[28:29], -v[82:83]
	;; [unrolled: 2-line block ×5, first 2 shown]
	v_fma_f64 v[42:43], v[136:137], v[42:43], v[98:99]
	v_fma_f64 v[58:59], v[140:141], v[58:59], v[114:115]
	v_fma_f64 v[60:61], v[140:141], v[60:61], -v[116:117]
	v_fma_f64 v[52:53], v[144:145], v[52:53], -v[112:113]
	v_fma_f64 v[66:67], v[148:149], v[66:67], v[118:119]
	v_fma_f64 v[46:47], v[152:153], v[46:47], v[106:107]
	v_fma_f64 v[64:65], v[156:157], v[64:65], -v[122:123]
	v_or_b32_e32 v118, 0x600, v20
	v_fma_f64 v[68:69], v[148:149], v[68:69], -v[3:4]
	v_add_f64_e64 v[50:51], v[7:8], -v[50:51]
	v_fma_f64 v[22:23], v[160:161], v[56:57], -v[22:23]
	v_add_f64_e64 v[48:49], v[17:18], -v[48:49]
	v_fma_f64 v[54:55], v[160:161], v[54:55], v[5:6]
	v_fma_f64 v[62:63], v[156:157], v[62:63], v[104:105]
	v_fma_f64 v[56:57], v[164:165], v[72:73], -v[74:75]
	v_fma_f64 v[70:71], v[164:165], v[70:71], v[100:101]
	v_or_b32_e32 v100, 0x300, v20
	v_or_b32_e32 v101, 0x480, v20
	v_add_f64_e64 v[58:59], v[26:27], -v[58:59]
	v_add_f64_e64 v[60:61], v[28:29], -v[60:61]
	;; [unrolled: 1-line block ×7, first 2 shown]
	v_fma_f64 v[7:8], v[7:8], 2.0, -v[50:51]
	v_add_f64_e64 v[22:23], v[13:14], -v[22:23]
	v_fma_f64 v[17:18], v[17:18], 2.0, -v[48:49]
	v_add_f64_e64 v[54:55], v[11:12], -v[54:55]
	v_add_f64_e64 v[62:63], v[30:31], -v[62:63]
	v_add_f64_e64 v[56:57], v[40:41], -v[56:57]
	v_add_f64_e64 v[70:71], v[38:39], -v[70:71]
	v_fma_f64 v[26:27], v[26:27], 2.0, -v[58:59]
	v_fma_f64 v[28:29], v[28:29], 2.0, -v[60:61]
	;; [unrolled: 1-line block ×3, first 2 shown]
	v_add_f64_e64 v[78:79], v[52:53], -v[66:67]
	v_fma_f64 v[34:35], v[34:35], 2.0, -v[66:67]
	v_add_f64_e32 v[80:81], v[46:47], v[64:65]
	v_fma_f64 v[15:16], v[15:16], 2.0, -v[46:47]
	v_fma_f64 v[32:33], v[32:33], 2.0, -v[64:65]
	v_add_f64_e32 v[76:77], v[50:51], v[68:69]
	v_fma_f64 v[36:37], v[36:37], 2.0, -v[68:69]
	v_fma_f64 v[13:14], v[13:14], 2.0, -v[22:23]
	;; [unrolled: 1-line block ×3, first 2 shown]
	v_add_f64_e64 v[82:83], v[48:49], -v[62:63]
	v_add_f64_e32 v[84:85], v[54:55], v[56:57]
	v_add_f64_e64 v[86:87], v[22:23], -v[70:71]
	v_fma_f64 v[30:31], v[30:31], 2.0, -v[62:63]
	v_fma_f64 v[40:41], v[40:41], 2.0, -v[56:57]
	;; [unrolled: 1-line block ×4, first 2 shown]
	v_add_f64_e64 v[34:35], v[7:8], -v[34:35]
	v_fma_f64 v[46:47], v[46:47], 2.0, -v[80:81]
	v_add_f64_e64 v[32:33], v[17:18], -v[32:33]
	v_fma_f64 v[50:51], v[50:51], 2.0, -v[76:77]
	;; [unrolled: 2-line block ×3, first 2 shown]
	v_fma_f64 v[54:55], v[54:55], 2.0, -v[84:85]
	v_fma_f64 v[22:23], v[22:23], 2.0, -v[86:87]
	v_add_f64_e64 v[30:31], v[15:16], -v[30:31]
	v_add_f64_e64 v[40:41], v[13:14], -v[40:41]
	;; [unrolled: 1-line block ×3, first 2 shown]
	v_fma_f64 v[62:63], v[86:87], s[2:3], v[82:83]
	v_fma_f64 v[7:8], v[7:8], 2.0, -v[34:35]
	v_fma_f64 v[17:18], v[17:18], 2.0, -v[32:33]
	;; [unrolled: 1-line block ×3, first 2 shown]
	v_fma_f64 v[68:69], v[54:55], s[0:1], v[46:47]
	v_fma_f64 v[70:71], v[22:23], s[0:1], v[48:49]
	v_fma_f64 v[15:16], v[15:16], 2.0, -v[30:31]
	v_fma_f64 v[13:14], v[13:14], 2.0, -v[40:41]
	;; [unrolled: 1-line block ×3, first 2 shown]
	v_fma_f64 v[62:63], v[84:85], s[0:1], v[62:63]
	v_fma_f64 v[22:23], v[22:23], s[2:3], v[68:69]
	s_wait_loadcnt 0x0
	ds_load_b128 v[3:6], v102
	global_wb scope:SCOPE_SE
	s_wait_dscnt 0x0
	s_barrier_signal -1
	s_barrier_wait -1
	global_inv scope:SCOPE_SE
	v_add_f64_e64 v[42:43], v[3:4], -v[42:43]
	v_add_f64_e64 v[44:45], v[5:6], -v[44:45]
	s_delay_alu instid0(VALU_DEP_2) | instskip(NEXT) | instid1(VALU_DEP_2)
	v_add_f64_e32 v[72:73], v[42:43], v[60:61]
	v_add_f64_e64 v[74:75], v[44:45], -v[58:59]
	v_fma_f64 v[3:4], v[3:4], 2.0, -v[42:43]
	v_fma_f64 v[5:6], v[5:6], 2.0, -v[44:45]
	v_fma_f64 v[60:61], v[84:85], s[2:3], v[80:81]
	v_fma_f64 v[42:43], v[42:43], 2.0, -v[72:73]
	v_fma_f64 v[44:45], v[44:45], 2.0, -v[74:75]
	v_add_f64_e64 v[26:27], v[3:4], -v[26:27]
	v_add_f64_e64 v[28:29], v[5:6], -v[28:29]
	v_fma_f64 v[56:57], v[76:77], s[2:3], v[72:73]
	v_fma_f64 v[58:59], v[78:79], s[2:3], v[74:75]
	;; [unrolled: 1-line block ×5, first 2 shown]
	v_add_f64_e32 v[88:89], v[26:27], v[36:37]
	v_add_f64_e64 v[90:91], v[28:29], -v[34:35]
	v_add_f64_e32 v[34:35], v[30:31], v[40:41]
	v_add_f64_e64 v[36:37], v[32:33], -v[38:39]
	v_fma_f64 v[56:57], v[78:79], s[2:3], v[56:57]
	v_fma_f64 v[58:59], v[76:77], s[0:1], v[58:59]
	v_fma_f64 v[3:4], v[3:4], 2.0, -v[26:27]
	v_fma_f64 v[5:6], v[5:6], 2.0, -v[28:29]
	v_fma_f64 v[38:39], v[54:55], s[0:1], v[70:71]
	v_add_f64_e64 v[40:41], v[15:16], -v[11:12]
	v_add_f64_e64 v[11:12], v[17:18], -v[13:14]
	v_fma_f64 v[76:77], v[52:53], s[2:3], v[64:65]
	v_fma_f64 v[78:79], v[50:51], s[0:1], v[66:67]
	v_fma_f64 v[66:67], v[26:27], 2.0, -v[88:89]
	v_fma_f64 v[68:69], v[28:29], 2.0, -v[90:91]
	;; [unrolled: 1-line block ×8, first 2 shown]
	v_add_f64_e64 v[54:55], v[3:4], -v[7:8]
	v_add_f64_e64 v[64:65], v[5:6], -v[9:10]
	v_fma_f64 v[7:8], v[34:35], s[2:3], v[88:89]
	v_fma_f64 v[9:10], v[36:37], s[2:3], v[90:91]
	;; [unrolled: 1-line block ×3, first 2 shown]
	v_fma_f64 v[15:16], v[15:16], 2.0, -v[40:41]
	v_fma_f64 v[17:18], v[17:18], 2.0, -v[11:12]
	;; [unrolled: 1-line block ×6, first 2 shown]
	v_fma_f64 v[46:47], v[62:63], s[16:17], v[58:59]
	v_fma_f64 v[48:49], v[28:29], s[0:1], v[66:67]
	;; [unrolled: 1-line block ×4, first 2 shown]
	s_wait_alu 0xfffe
	v_fma_f64 v[52:53], v[32:33], s[14:15], v[70:71]
	v_fma_f64 v[86:87], v[30:31], s[14:15], v[72:73]
	;; [unrolled: 1-line block ×3, first 2 shown]
	v_fma_f64 v[82:83], v[3:4], 2.0, -v[54:55]
	v_fma_f64 v[84:85], v[5:6], 2.0, -v[64:65]
	v_fma_f64 v[3:4], v[36:37], s[2:3], v[7:8]
	v_fma_f64 v[5:6], v[34:35], s[0:1], v[9:10]
	;; [unrolled: 1-line block ×3, first 2 shown]
	v_add_f64_e64 v[13:14], v[64:65], -v[40:41]
	v_add_f64_e32 v[11:12], v[54:55], v[11:12]
	v_fma_f64 v[96:97], v[44:45], s[8:9], v[74:75]
	v_fma_f64 v[98:99], v[42:43], s[8:9], v[80:81]
	v_fma_f64 v[9:10], v[60:61], s[14:15], v[46:47]
	v_fma_f64 v[26:27], v[26:27], s[2:3], v[48:49]
	v_fma_f64 v[28:29], v[28:29], s[0:1], v[50:51]
	v_fma_f64 v[34:35], v[38:39], s[16:17], v[92:93]
	v_fma_f64 v[30:31], v[30:31], s[16:17], v[52:53]
	v_fma_f64 v[32:33], v[32:33], s[8:9], v[86:87]
	v_fma_f64 v[36:37], v[22:23], s[8:9], v[94:95]
	v_add_f64_e64 v[38:39], v[82:83], -v[15:16]
	v_add_f64_e64 v[40:41], v[84:85], -v[17:18]
	v_fma_f64 v[46:47], v[88:89], 2.0, -v[3:4]
	v_fma_f64 v[48:49], v[90:91], 2.0, -v[5:6]
	;; [unrolled: 1-line block ×5, first 2 shown]
	s_mul_u64 s[0:1], s[4:5], 0xc0
	s_mov_b32 s2, 0x11111111
	s_mov_b32 s3, 0x3f411111
	s_mul_u64 s[8:9], s[4:5], 0x1800
	v_fma_f64 v[42:43], v[42:43], s[12:13], v[96:97]
	v_fma_f64 v[44:45], v[44:45], s[14:15], v[98:99]
	v_fma_f64 v[52:53], v[58:59], 2.0, -v[9:10]
	v_fma_f64 v[58:59], v[66:67], 2.0, -v[26:27]
	;; [unrolled: 1-line block ×11, first 2 shown]
	ds_store_b128 v25, v[3:6] offset:13440
	ds_store_b128 v25, v[7:10] offset:14400
	ds_store_b128 v25, v[46:49] offset:5760
	ds_store_b128 v25, v[50:53] offset:6720
	ds_store_b128 v25, v[26:29] offset:9600
	ds_store_b128 v25, v[30:33] offset:10560
	ds_store_b128 v25, v[11:14] offset:11520
	ds_store_b128 v25, v[34:37] offset:12480
	ds_store_b128 v25, v[58:61] offset:1920
	ds_store_b128 v25, v[62:65] offset:2880
	ds_store_b128 v25, v[54:57] offset:3840
	ds_store_b128 v25, v[66:69] offset:4800
	ds_store_b128 v25, v[38:41] offset:7680
	ds_store_b128 v25, v[42:45] offset:8640
	ds_store_b128 v25, v[70:73]
	ds_store_b128 v25, v[74:77] offset:960
	global_wb scope:SCOPE_SE
	s_wait_dscnt 0x0
	s_barrier_signal -1
	s_barrier_wait -1
	global_inv scope:SCOPE_SE
	ds_load_b128 v[3:6], v21 offset:15360
	ds_load_b128 v[7:10], v21 offset:17280
	;; [unrolled: 1-line block ×8, first 2 shown]
	s_wait_dscnt 0x7
	v_mul_f64_e32 v[15:16], v[170:171], v[5:6]
	v_mul_f64_e32 v[17:18], v[170:171], v[3:4]
	s_wait_dscnt 0x6
	v_mul_f64_e32 v[42:43], v[174:175], v[9:10]
	v_mul_f64_e32 v[44:45], v[174:175], v[7:8]
	;; [unrolled: 3-line block ×8, first 2 shown]
	v_fma_f64 v[15:16], v[168:169], v[3:4], v[15:16]
	v_fma_f64 v[17:18], v[168:169], v[5:6], -v[17:18]
	v_fma_f64 v[70:71], v[172:173], v[7:8], v[42:43]
	v_fma_f64 v[72:73], v[172:173], v[9:10], -v[44:45]
	;; [unrolled: 2-line block ×8, first 2 shown]
	ds_load_b128 v[3:6], v102
	ds_load_b128 v[7:10], v21 offset:1920
	ds_load_b128 v[11:14], v21 offset:3840
	;; [unrolled: 1-line block ×7, first 2 shown]
	s_wait_dscnt 0x7
	v_add_f64_e64 v[42:43], v[3:4], -v[15:16]
	scratch_load_b64 v[15:16], off, off offset:16 th:TH_LOAD_LU ; 8-byte Folded Reload
	v_add_f64_e64 v[44:45], v[5:6], -v[17:18]
	s_wait_dscnt 0x6
	v_add_f64_e64 v[46:47], v[7:8], -v[70:71]
	v_add_f64_e64 v[48:49], v[9:10], -v[72:73]
	s_wait_dscnt 0x5
	v_add_f64_e64 v[50:51], v[11:12], -v[74:75]
	;; [unrolled: 3-line block ×7, first 2 shown]
	v_add_f64_e64 v[72:73], v[40:41], -v[96:97]
	v_mad_co_u64_u32 v[76:77], null, s4, v100, 0
	v_or_b32_e32 v83, 0x180, v20
	v_mad_co_u64_u32 v[18:19], null, s4, v20, 0
	v_mad_co_u64_u32 v[80:81], null, s4, v118, 0
	s_delay_alu instid0(VALU_DEP_3) | instskip(SKIP_1) | instid1(VALU_DEP_4)
	v_mad_co_u64_u32 v[74:75], null, s4, v83, 0
	v_mad_co_u64_u32 v[78:79], null, s4, v101, 0
	;; [unrolled: 1-line block ×3, first 2 shown]
	v_fma_f64 v[3:4], v[3:4], 2.0, -v[42:43]
	v_fma_f64 v[5:6], v[5:6], 2.0, -v[44:45]
	;; [unrolled: 1-line block ×16, first 2 shown]
	ds_store_b128 v102, v[3:6]
	ds_store_b128 v21, v[7:10] offset:1920
	ds_store_b128 v21, v[11:14] offset:3840
	;; [unrolled: 1-line block ×15, first 2 shown]
	global_wb scope:SCOPE_SE
	s_wait_loadcnt_dscnt 0x0
	s_barrier_signal -1
	s_barrier_wait -1
	global_inv scope:SCOPE_SE
	ds_load_b128 v[0:3], v102
	ds_load_b128 v[4:7], v21 offset:3072
	ds_load_b128 v[8:11], v21 offset:6144
	v_dual_mov_b32 v46, v75 :: v_dual_mov_b32 v49, v81
	v_dual_mov_b32 v47, v77 :: v_dual_mov_b32 v82, v15
	ds_load_b128 v[12:15], v21 offset:9216
	ds_load_b128 v[22:25], v21 offset:12288
	;; [unrolled: 1-line block ×7, first 2 shown]
	s_clause 0x6
	scratch_load_b128 v[119:122], off, off offset:88 th:TH_LOAD_LU
	scratch_load_b128 v[127:130], off, off offset:136 th:TH_LOAD_LU
	;; [unrolled: 1-line block ×7, first 2 shown]
	v_mad_co_u64_u32 v[16:17], null, s6, v82, 0
	s_delay_alu instid0(VALU_DEP_1)
	v_mad_co_u64_u32 v[50:51], null, s7, v82, v[17:18]
	v_mad_co_u64_u32 v[51:52], null, s5, v83, v[46:47]
	v_mov_b32_e32 v48, v79
	v_lshlrev_b64_e32 v[18:19], 4, v[18:19]
	s_wait_alu 0xfffe
	s_lshl_b64 s[6:7], s[0:1], 4
	s_delay_alu instid0(VALU_DEP_4)
	v_mov_b32_e32 v17, v50
	v_mad_co_u64_u32 v[46:47], null, s5, v100, v[47:48]
	v_mad_co_u64_u32 v[47:48], null, s5, v101, v[48:49]
	;; [unrolled: 1-line block ×3, first 2 shown]
	v_mov_b32_e32 v75, v51
	v_lshlrev_b64_e32 v[16:17], 4, v[16:17]
	v_mov_b32_e32 v77, v46
	v_mov_b32_e32 v79, v47
	s_delay_alu instid0(VALU_DEP_4) | instskip(SKIP_1) | instid1(VALU_DEP_4)
	v_lshlrev_b64_e32 v[46:47], 4, v[74:75]
	v_mov_b32_e32 v81, v48
	v_lshlrev_b64_e32 v[50:51], 4, v[76:77]
	v_add_co_u32 v20, s0, s10, v16
	v_lshlrev_b64_e32 v[78:79], 4, v[78:79]
	s_wait_loadcnt_dscnt 0x605
	v_mul_f64_e32 v[68:69], v[121:122], v[24:25]
	v_mul_f64_e32 v[70:71], v[121:122], v[22:23]
	scratch_load_b128 v[121:124], off, off offset:104 th:TH_LOAD_LU ; 16-byte Folded Reload
	s_wait_loadcnt_dscnt 0x602
	v_mul_f64_e32 v[88:89], v[129:130], v[36:37]
	v_mul_f64_e32 v[90:91], v[129:130], v[34:35]
	scratch_load_b128 v[129:132], off, off offset:152 th:TH_LOAD_LU ; 16-byte Folded Reload
	s_wait_loadcnt 0x6
	v_mul_f64_e32 v[52:53], v[116:117], v[2:3]
	v_mul_f64_e32 v[54:55], v[116:117], v[0:1]
	s_wait_loadcnt 0x5
	v_mul_f64_e32 v[56:57], v[112:113], v[6:7]
	v_mul_f64_e32 v[58:59], v[112:113], v[4:5]
	;; [unrolled: 3-line block ×4, first 2 shown]
	v_fma_f64 v[74:75], v[127:128], v[34:35], v[88:89]
	v_fma_f64 v[76:77], v[127:128], v[36:37], -v[90:91]
	v_fma_f64 v[0:1], v[114:115], v[0:1], v[52:53]
	v_fma_f64 v[48:49], v[114:115], v[2:3], -v[54:55]
	;; [unrolled: 2-line block ×6, first 2 shown]
	v_mul_f64_e32 v[2:3], s[2:3], v[0:1]
	v_mul_f64_e32 v[4:5], s[2:3], v[48:49]
	;; [unrolled: 1-line block ×8, first 2 shown]
	s_wait_loadcnt 0x1
	v_mul_f64_e32 v[84:85], v[123:124], v[32:33]
	v_mul_f64_e32 v[86:87], v[123:124], v[30:31]
	scratch_load_b128 v[123:126], off, off offset:120 th:TH_LOAD_LU ; 16-byte Folded Reload
	v_mul_f64_e32 v[72:73], v[135:136], v[28:29]
	v_mul_f64_e32 v[82:83], v[135:136], v[26:27]
	s_wait_loadcnt_dscnt 0x100
	v_mul_f64_e32 v[96:97], v[131:132], v[44:45]
	v_mul_f64_e32 v[98:99], v[131:132], v[42:43]
	v_fma_f64 v[70:71], v[121:122], v[30:31], v[84:85]
	v_fma_f64 v[66:67], v[133:134], v[26:27], v[72:73]
	v_fma_f64 v[68:69], v[133:134], v[28:29], -v[82:83]
	v_fma_f64 v[72:73], v[121:122], v[32:33], -v[86:87]
	v_fma_f64 v[86:87], v[129:130], v[42:43], v[96:97]
	v_fma_f64 v[88:89], v[129:130], v[44:45], -v[98:99]
	v_mul_f64_e32 v[26:27], s[2:3], v[62:63]
	v_mul_f64_e32 v[28:29], s[2:3], v[64:65]
	;; [unrolled: 1-line block ×7, first 2 shown]
	s_wait_loadcnt 0x0
	v_mul_f64_e32 v[92:93], v[125:126], v[40:41]
	v_mul_f64_e32 v[94:95], v[125:126], v[38:39]
	s_delay_alu instid0(VALU_DEP_2) | instskip(NEXT) | instid1(VALU_DEP_2)
	v_fma_f64 v[82:83], v[123:124], v[38:39], v[92:93]
	v_fma_f64 v[84:85], v[123:124], v[40:41], -v[94:95]
	s_wait_alu 0xf1ff
	v_add_co_ci_u32_e64 v92, s0, s11, v17, s0
	v_add_co_u32 v18, s0, v20, v18
	v_lshlrev_b64_e32 v[16:17], 4, v[80:81]
	s_wait_alu 0xf1ff
	s_delay_alu instid0(VALU_DEP_3)
	v_add_co_ci_u32_e64 v19, s0, v92, v19, s0
	v_add_co_u32 v80, s0, v20, v46
	s_wait_alu 0xf1ff
	v_add_co_ci_u32_e64 v81, s0, v92, v47, s0
	v_mul_f64_e32 v[38:39], s[2:3], v[74:75]
	v_mul_f64_e32 v[40:41], s[2:3], v[76:77]
	s_wait_alu 0xfffe
	v_add_co_u32 v90, s0, v18, s6
	v_mul_f64_e32 v[46:47], s[2:3], v[86:87]
	s_wait_alu 0xf1ff
	v_add_co_ci_u32_e64 v91, s0, s7, v19, s0
	s_delay_alu instid0(VALU_DEP_3) | instskip(SKIP_1) | instid1(VALU_DEP_2)
	v_add_co_u32 v14, s0, v90, s8
	s_wait_alu 0xf1ff
	v_add_co_ci_u32_e64 v15, s0, s9, v91, s0
	v_add_co_u32 v50, s0, v20, v50
	s_wait_alu 0xf1ff
	v_add_co_ci_u32_e64 v51, s0, v92, v51, s0
	;; [unrolled: 3-line block ×4, first 2 shown]
	v_add_co_u32 v56, s0, v52, s8
	v_mul_f64_e32 v[42:43], s[2:3], v[82:83]
	v_mul_f64_e32 v[44:45], s[2:3], v[84:85]
	s_wait_alu 0xf1ff
	v_add_co_ci_u32_e64 v57, s0, s9, v53, s0
	v_add_co_u32 v16, s0, v20, v16
	s_wait_alu 0xf1ff
	v_add_co_ci_u32_e64 v17, s0, v92, v17, s0
	v_add_co_u32 v0, s0, v56, s8
	s_wait_alu 0xf1ff
	v_add_co_ci_u32_e64 v1, s0, s9, v57, s0
	s_clause 0x8
	global_store_b128 v[18:19], v[2:5], off
	global_store_b128 v[90:91], v[6:9], off
	global_store_b128 v[80:81], v[10:13], off
	global_store_b128 v[14:15], v[22:25], off
	global_store_b128 v[50:51], v[26:29], off
	global_store_b128 v[52:53], v[30:33], off
	global_store_b128 v[54:55], v[34:37], off
	global_store_b128 v[56:57], v[38:41], off
	global_store_b128 v[16:17], v[42:45], off
	global_store_b128 v[0:1], v[46:49], off
	s_and_b32 exec_lo, exec_lo, vcc_lo
	s_cbranch_execz .LBB0_23
; %bb.22:
	scratch_load_b64 v[16:17], off, off offset:4 th:TH_LOAD_LU ; 8-byte Folded Reload
	s_mul_i32 s0, s5, 0xffff9b80
	s_wait_alu 0xfffe
	s_sub_co_i32 s0, s0, s4
	s_wait_loadcnt 0x0
	global_load_b128 v[2:5], v[16:17], off offset:1920
	ds_load_b128 v[6:9], v21 offset:1920
	ds_load_b128 v[10:13], v21 offset:4992
	s_wait_loadcnt_dscnt 0x1
	v_mul_f64_e32 v[14:15], v[8:9], v[4:5]
	v_mul_f64_e32 v[4:5], v[6:7], v[4:5]
	s_delay_alu instid0(VALU_DEP_2) | instskip(NEXT) | instid1(VALU_DEP_2)
	v_fma_f64 v[6:7], v[6:7], v[2:3], v[14:15]
	v_fma_f64 v[4:5], v[2:3], v[8:9], -v[4:5]
	s_delay_alu instid0(VALU_DEP_2) | instskip(NEXT) | instid1(VALU_DEP_2)
	v_mul_f64_e32 v[2:3], s[2:3], v[6:7]
	v_mul_f64_e32 v[4:5], s[2:3], v[4:5]
	v_mad_co_u64_u32 v[6:7], null, 0xffff9b80, s4, v[0:1]
	s_wait_alu 0xfffe
	s_delay_alu instid0(VALU_DEP_1)
	v_add_nc_u32_e32 v7, s0, v7
	global_store_b128 v[6:7], v[2:5], off
	global_load_b128 v[0:3], v[16:17], off offset:4992
	s_wait_loadcnt_dscnt 0x0
	v_mul_f64_e32 v[4:5], v[12:13], v[2:3]
	v_mul_f64_e32 v[2:3], v[10:11], v[2:3]
	s_delay_alu instid0(VALU_DEP_2) | instskip(NEXT) | instid1(VALU_DEP_2)
	v_fma_f64 v[4:5], v[10:11], v[0:1], v[4:5]
	v_fma_f64 v[2:3], v[0:1], v[12:13], -v[2:3]
	v_add_co_u32 v12, vcc_lo, v6, s6
	s_wait_alu 0xfffd
	v_add_co_ci_u32_e32 v13, vcc_lo, s7, v7, vcc_lo
	s_delay_alu instid0(VALU_DEP_4) | instskip(NEXT) | instid1(VALU_DEP_4)
	v_mul_f64_e32 v[0:1], s[2:3], v[4:5]
	v_mul_f64_e32 v[2:3], s[2:3], v[2:3]
	global_store_b128 v[12:13], v[0:3], off
	global_load_b128 v[0:3], v[16:17], off offset:8064
	ds_load_b128 v[4:7], v21 offset:8064
	ds_load_b128 v[8:11], v21 offset:11136
	s_wait_loadcnt_dscnt 0x1
	v_mul_f64_e32 v[14:15], v[6:7], v[2:3]
	v_mul_f64_e32 v[2:3], v[4:5], v[2:3]
	s_delay_alu instid0(VALU_DEP_2) | instskip(NEXT) | instid1(VALU_DEP_2)
	v_fma_f64 v[4:5], v[4:5], v[0:1], v[14:15]
	v_fma_f64 v[2:3], v[0:1], v[6:7], -v[2:3]
	s_delay_alu instid0(VALU_DEP_2) | instskip(NEXT) | instid1(VALU_DEP_2)
	v_mul_f64_e32 v[0:1], s[2:3], v[4:5]
	v_mul_f64_e32 v[2:3], s[2:3], v[2:3]
	v_add_co_u32 v4, vcc_lo, v12, s6
	s_wait_alu 0xfffd
	v_add_co_ci_u32_e32 v5, vcc_lo, s7, v13, vcc_lo
	s_delay_alu instid0(VALU_DEP_2) | instskip(SKIP_1) | instid1(VALU_DEP_2)
	v_add_co_u32 v12, vcc_lo, v4, s6
	s_wait_alu 0xfffd
	v_add_co_ci_u32_e32 v13, vcc_lo, s7, v5, vcc_lo
	global_store_b128 v[4:5], v[0:3], off
	global_load_b128 v[0:3], v[16:17], off offset:11136
	s_wait_loadcnt_dscnt 0x0
	v_mul_f64_e32 v[6:7], v[10:11], v[2:3]
	v_mul_f64_e32 v[2:3], v[8:9], v[2:3]
	s_delay_alu instid0(VALU_DEP_2) | instskip(NEXT) | instid1(VALU_DEP_2)
	v_fma_f64 v[6:7], v[8:9], v[0:1], v[6:7]
	v_fma_f64 v[2:3], v[0:1], v[10:11], -v[2:3]
	s_delay_alu instid0(VALU_DEP_2) | instskip(NEXT) | instid1(VALU_DEP_2)
	v_mul_f64_e32 v[0:1], s[2:3], v[6:7]
	v_mul_f64_e32 v[2:3], s[2:3], v[2:3]
	global_store_b128 v[12:13], v[0:3], off
	global_load_b128 v[0:3], v[16:17], off offset:14208
	ds_load_b128 v[4:7], v21 offset:14208
	ds_load_b128 v[8:11], v21 offset:17280
	s_wait_loadcnt_dscnt 0x1
	v_mul_f64_e32 v[14:15], v[6:7], v[2:3]
	v_mul_f64_e32 v[2:3], v[4:5], v[2:3]
	s_delay_alu instid0(VALU_DEP_2) | instskip(NEXT) | instid1(VALU_DEP_2)
	v_fma_f64 v[4:5], v[4:5], v[0:1], v[14:15]
	v_fma_f64 v[2:3], v[0:1], v[6:7], -v[2:3]
	s_delay_alu instid0(VALU_DEP_2) | instskip(NEXT) | instid1(VALU_DEP_2)
	v_mul_f64_e32 v[0:1], s[2:3], v[4:5]
	v_mul_f64_e32 v[2:3], s[2:3], v[2:3]
	v_add_co_u32 v4, vcc_lo, v12, s6
	s_wait_alu 0xfffd
	v_add_co_ci_u32_e32 v5, vcc_lo, s7, v13, vcc_lo
	s_delay_alu instid0(VALU_DEP_2) | instskip(SKIP_1) | instid1(VALU_DEP_2)
	v_add_co_u32 v12, vcc_lo, v4, s6
	s_wait_alu 0xfffd
	v_add_co_ci_u32_e32 v13, vcc_lo, s7, v5, vcc_lo
	global_store_b128 v[4:5], v[0:3], off
	global_load_b128 v[0:3], v[16:17], off offset:17280
	s_wait_loadcnt_dscnt 0x0
	v_mul_f64_e32 v[6:7], v[10:11], v[2:3]
	v_mul_f64_e32 v[2:3], v[8:9], v[2:3]
	s_delay_alu instid0(VALU_DEP_2) | instskip(NEXT) | instid1(VALU_DEP_2)
	v_fma_f64 v[6:7], v[8:9], v[0:1], v[6:7]
	v_fma_f64 v[2:3], v[0:1], v[10:11], -v[2:3]
	s_delay_alu instid0(VALU_DEP_2) | instskip(NEXT) | instid1(VALU_DEP_2)
	;; [unrolled: 31-line block ×3, first 2 shown]
	v_mul_f64_e32 v[0:1], s[2:3], v[6:7]
	v_mul_f64_e32 v[2:3], s[2:3], v[2:3]
	global_store_b128 v[12:13], v[0:3], off
	global_load_b128 v[0:3], v[16:17], off offset:26496
	ds_load_b128 v[4:7], v21 offset:26496
	ds_load_b128 v[8:11], v21 offset:29568
	s_wait_loadcnt_dscnt 0x1
	v_mul_f64_e32 v[14:15], v[6:7], v[2:3]
	v_mul_f64_e32 v[2:3], v[4:5], v[2:3]
	s_delay_alu instid0(VALU_DEP_2) | instskip(NEXT) | instid1(VALU_DEP_2)
	v_fma_f64 v[4:5], v[4:5], v[0:1], v[14:15]
	v_fma_f64 v[2:3], v[0:1], v[6:7], -v[2:3]
	s_delay_alu instid0(VALU_DEP_2) | instskip(NEXT) | instid1(VALU_DEP_2)
	v_mul_f64_e32 v[0:1], s[2:3], v[4:5]
	v_mul_f64_e32 v[2:3], s[2:3], v[2:3]
	v_add_co_u32 v4, vcc_lo, v12, s6
	s_wait_alu 0xfffd
	v_add_co_ci_u32_e32 v5, vcc_lo, s7, v13, vcc_lo
	global_store_b128 v[4:5], v[0:3], off
	global_load_b128 v[0:3], v[16:17], off offset:29568
	v_add_co_u32 v4, vcc_lo, v4, s6
	s_wait_alu 0xfffd
	v_add_co_ci_u32_e32 v5, vcc_lo, s7, v5, vcc_lo
	s_wait_loadcnt_dscnt 0x0
	v_mul_f64_e32 v[6:7], v[10:11], v[2:3]
	v_mul_f64_e32 v[2:3], v[8:9], v[2:3]
	s_delay_alu instid0(VALU_DEP_2) | instskip(NEXT) | instid1(VALU_DEP_2)
	v_fma_f64 v[6:7], v[8:9], v[0:1], v[6:7]
	v_fma_f64 v[2:3], v[0:1], v[10:11], -v[2:3]
	s_delay_alu instid0(VALU_DEP_2) | instskip(NEXT) | instid1(VALU_DEP_2)
	v_mul_f64_e32 v[0:1], s[2:3], v[6:7]
	v_mul_f64_e32 v[2:3], s[2:3], v[2:3]
	global_store_b128 v[4:5], v[0:3], off
.LBB0_23:
	s_nop 0
	s_sendmsg sendmsg(MSG_DEALLOC_VGPRS)
	s_endpgm
	.section	.rodata,"a",@progbits
	.p2align	6, 0x0
	.amdhsa_kernel bluestein_single_back_len1920_dim1_dp_op_CI_CI
		.amdhsa_group_segment_fixed_size 61440
		.amdhsa_private_segment_fixed_size 308
		.amdhsa_kernarg_size 104
		.amdhsa_user_sgpr_count 2
		.amdhsa_user_sgpr_dispatch_ptr 0
		.amdhsa_user_sgpr_queue_ptr 0
		.amdhsa_user_sgpr_kernarg_segment_ptr 1
		.amdhsa_user_sgpr_dispatch_id 0
		.amdhsa_user_sgpr_private_segment_size 0
		.amdhsa_wavefront_size32 1
		.amdhsa_uses_dynamic_stack 0
		.amdhsa_enable_private_segment 1
		.amdhsa_system_sgpr_workgroup_id_x 1
		.amdhsa_system_sgpr_workgroup_id_y 0
		.amdhsa_system_sgpr_workgroup_id_z 0
		.amdhsa_system_sgpr_workgroup_info 0
		.amdhsa_system_vgpr_workitem_id 0
		.amdhsa_next_free_vgpr 256
		.amdhsa_next_free_sgpr 24
		.amdhsa_reserve_vcc 1
		.amdhsa_float_round_mode_32 0
		.amdhsa_float_round_mode_16_64 0
		.amdhsa_float_denorm_mode_32 3
		.amdhsa_float_denorm_mode_16_64 3
		.amdhsa_fp16_overflow 0
		.amdhsa_workgroup_processor_mode 1
		.amdhsa_memory_ordered 1
		.amdhsa_forward_progress 0
		.amdhsa_round_robin_scheduling 0
		.amdhsa_exception_fp_ieee_invalid_op 0
		.amdhsa_exception_fp_denorm_src 0
		.amdhsa_exception_fp_ieee_div_zero 0
		.amdhsa_exception_fp_ieee_overflow 0
		.amdhsa_exception_fp_ieee_underflow 0
		.amdhsa_exception_fp_ieee_inexact 0
		.amdhsa_exception_int_div_zero 0
	.end_amdhsa_kernel
	.text
.Lfunc_end0:
	.size	bluestein_single_back_len1920_dim1_dp_op_CI_CI, .Lfunc_end0-bluestein_single_back_len1920_dim1_dp_op_CI_CI
                                        ; -- End function
	.section	.AMDGPU.csdata,"",@progbits
; Kernel info:
; codeLenInByte = 21868
; NumSgprs: 26
; NumVgprs: 256
; ScratchSize: 308
; MemoryBound: 0
; FloatMode: 240
; IeeeMode: 1
; LDSByteSize: 61440 bytes/workgroup (compile time only)
; SGPRBlocks: 3
; VGPRBlocks: 31
; NumSGPRsForWavesPerEU: 26
; NumVGPRsForWavesPerEU: 256
; Occupancy: 4
; WaveLimiterHint : 1
; COMPUTE_PGM_RSRC2:SCRATCH_EN: 1
; COMPUTE_PGM_RSRC2:USER_SGPR: 2
; COMPUTE_PGM_RSRC2:TRAP_HANDLER: 0
; COMPUTE_PGM_RSRC2:TGID_X_EN: 1
; COMPUTE_PGM_RSRC2:TGID_Y_EN: 0
; COMPUTE_PGM_RSRC2:TGID_Z_EN: 0
; COMPUTE_PGM_RSRC2:TIDIG_COMP_CNT: 0
	.text
	.p2alignl 7, 3214868480
	.fill 96, 4, 3214868480
	.type	__hip_cuid_3c99fcc635dc195b,@object ; @__hip_cuid_3c99fcc635dc195b
	.section	.bss,"aw",@nobits
	.globl	__hip_cuid_3c99fcc635dc195b
__hip_cuid_3c99fcc635dc195b:
	.byte	0                               ; 0x0
	.size	__hip_cuid_3c99fcc635dc195b, 1

	.ident	"AMD clang version 19.0.0git (https://github.com/RadeonOpenCompute/llvm-project roc-6.4.0 25133 c7fe45cf4b819c5991fe208aaa96edf142730f1d)"
	.section	".note.GNU-stack","",@progbits
	.addrsig
	.addrsig_sym __hip_cuid_3c99fcc635dc195b
	.amdgpu_metadata
---
amdhsa.kernels:
  - .args:
      - .actual_access:  read_only
        .address_space:  global
        .offset:         0
        .size:           8
        .value_kind:     global_buffer
      - .actual_access:  read_only
        .address_space:  global
        .offset:         8
        .size:           8
        .value_kind:     global_buffer
      - .actual_access:  read_only
        .address_space:  global
        .offset:         16
        .size:           8
        .value_kind:     global_buffer
      - .actual_access:  read_only
        .address_space:  global
        .offset:         24
        .size:           8
        .value_kind:     global_buffer
      - .actual_access:  read_only
        .address_space:  global
        .offset:         32
        .size:           8
        .value_kind:     global_buffer
      - .offset:         40
        .size:           8
        .value_kind:     by_value
      - .address_space:  global
        .offset:         48
        .size:           8
        .value_kind:     global_buffer
      - .address_space:  global
        .offset:         56
        .size:           8
        .value_kind:     global_buffer
      - .address_space:  global
        .offset:         64
        .size:           8
        .value_kind:     global_buffer
      - .address_space:  global
        .offset:         72
        .size:           8
        .value_kind:     global_buffer
      - .offset:         80
        .size:           4
        .value_kind:     by_value
      - .address_space:  global
        .offset:         88
        .size:           8
        .value_kind:     global_buffer
      - .address_space:  global
        .offset:         96
        .size:           8
        .value_kind:     global_buffer
    .group_segment_fixed_size: 61440
    .kernarg_segment_align: 8
    .kernarg_segment_size: 104
    .language:       OpenCL C
    .language_version:
      - 2
      - 0
    .max_flat_workgroup_size: 240
    .name:           bluestein_single_back_len1920_dim1_dp_op_CI_CI
    .private_segment_fixed_size: 308
    .sgpr_count:     26
    .sgpr_spill_count: 0
    .symbol:         bluestein_single_back_len1920_dim1_dp_op_CI_CI.kd
    .uniform_work_group_size: 1
    .uses_dynamic_stack: false
    .vgpr_count:     256
    .vgpr_spill_count: 76
    .wavefront_size: 32
    .workgroup_processor_mode: 1
amdhsa.target:   amdgcn-amd-amdhsa--gfx1201
amdhsa.version:
  - 1
  - 2
...

	.end_amdgpu_metadata
